;; amdgpu-corpus repo=ROCm/rocFFT kind=compiled arch=gfx906 opt=O3
	.text
	.amdgcn_target "amdgcn-amd-amdhsa--gfx906"
	.amdhsa_code_object_version 6
	.protected	fft_rtc_fwd_len1078_factors_2_11_7_7_wgs_231_tpt_77_halfLds_half_op_CI_CI_unitstride_sbrr_R2C_dirReg ; -- Begin function fft_rtc_fwd_len1078_factors_2_11_7_7_wgs_231_tpt_77_halfLds_half_op_CI_CI_unitstride_sbrr_R2C_dirReg
	.globl	fft_rtc_fwd_len1078_factors_2_11_7_7_wgs_231_tpt_77_halfLds_half_op_CI_CI_unitstride_sbrr_R2C_dirReg
	.p2align	8
	.type	fft_rtc_fwd_len1078_factors_2_11_7_7_wgs_231_tpt_77_halfLds_half_op_CI_CI_unitstride_sbrr_R2C_dirReg,@function
fft_rtc_fwd_len1078_factors_2_11_7_7_wgs_231_tpt_77_halfLds_half_op_CI_CI_unitstride_sbrr_R2C_dirReg: ; @fft_rtc_fwd_len1078_factors_2_11_7_7_wgs_231_tpt_77_halfLds_half_op_CI_CI_unitstride_sbrr_R2C_dirReg
; %bb.0:
	s_load_dwordx4 s[8:11], s[4:5], 0x58
	s_load_dwordx4 s[12:15], s[4:5], 0x0
	;; [unrolled: 1-line block ×3, first 2 shown]
	v_mul_u32_u24_e32 v1, 0x354, v0
	v_lshrrev_b32_e32 v1, 16, v1
	v_mad_u64_u32 v[3:4], s[0:1], s6, 3, v[1:2]
	v_mov_b32_e32 v7, 0
	v_mov_b32_e32 v4, v7
	s_waitcnt lgkmcnt(0)
	v_cmp_lt_u64_e64 s[0:1], s[14:15], 2
	v_mov_b32_e32 v13, 0
	v_mov_b32_e32 v14, 0
	;; [unrolled: 1-line block ×4, first 2 shown]
	s_and_b64 vcc, exec, s[0:1]
	v_mov_b32_e32 v2, v14
	v_mov_b32_e32 v5, v3
	s_cbranch_vccnz .LBB0_8
; %bb.1:
	s_load_dwordx2 s[0:1], s[4:5], 0x10
	s_add_u32 s2, s18, 8
	s_addc_u32 s3, s19, 0
	s_add_u32 s6, s16, 8
	s_addc_u32 s7, s17, 0
	v_mov_b32_e32 v13, 0
	s_waitcnt lgkmcnt(0)
	s_add_u32 s20, s0, 8
	v_mov_b32_e32 v14, 0
	v_mov_b32_e32 v1, v13
	;; [unrolled: 1-line block ×3, first 2 shown]
	s_addc_u32 s21, s1, 0
	s_mov_b64 s[22:23], 1
	v_mov_b32_e32 v2, v14
	v_mov_b32_e32 v9, v3
.LBB0_2:                                ; =>This Inner Loop Header: Depth=1
	s_load_dwordx2 s[24:25], s[20:21], 0x0
                                        ; implicit-def: $vgpr5_vgpr6
	s_waitcnt lgkmcnt(0)
	v_or_b32_e32 v8, s25, v10
	v_cmp_ne_u64_e32 vcc, 0, v[7:8]
	s_and_saveexec_b64 s[0:1], vcc
	s_xor_b64 s[26:27], exec, s[0:1]
	s_cbranch_execz .LBB0_4
; %bb.3:                                ;   in Loop: Header=BB0_2 Depth=1
	v_cvt_f32_u32_e32 v4, s24
	v_cvt_f32_u32_e32 v5, s25
	s_sub_u32 s0, 0, s24
	s_subb_u32 s1, 0, s25
	v_mac_f32_e32 v4, 0x4f800000, v5
	v_rcp_f32_e32 v4, v4
	v_mul_f32_e32 v4, 0x5f7ffffc, v4
	v_mul_f32_e32 v5, 0x2f800000, v4
	v_trunc_f32_e32 v5, v5
	v_mac_f32_e32 v4, 0xcf800000, v5
	v_cvt_u32_f32_e32 v5, v5
	v_cvt_u32_f32_e32 v4, v4
	v_mul_lo_u32 v6, s0, v5
	v_mul_hi_u32 v8, s0, v4
	v_mul_lo_u32 v12, s1, v4
	v_mul_lo_u32 v11, s0, v4
	v_add_u32_e32 v6, v8, v6
	v_add_u32_e32 v6, v6, v12
	v_mul_hi_u32 v8, v4, v11
	v_mul_lo_u32 v12, v4, v6
	v_mul_hi_u32 v16, v4, v6
	v_mul_hi_u32 v15, v5, v11
	v_mul_lo_u32 v11, v5, v11
	v_mul_hi_u32 v17, v5, v6
	v_add_co_u32_e32 v8, vcc, v8, v12
	v_addc_co_u32_e32 v12, vcc, 0, v16, vcc
	v_mul_lo_u32 v6, v5, v6
	v_add_co_u32_e32 v8, vcc, v8, v11
	v_addc_co_u32_e32 v8, vcc, v12, v15, vcc
	v_addc_co_u32_e32 v11, vcc, 0, v17, vcc
	v_add_co_u32_e32 v6, vcc, v8, v6
	v_addc_co_u32_e32 v8, vcc, 0, v11, vcc
	v_add_co_u32_e32 v4, vcc, v4, v6
	v_addc_co_u32_e32 v5, vcc, v5, v8, vcc
	v_mul_lo_u32 v6, s0, v5
	v_mul_hi_u32 v8, s0, v4
	v_mul_lo_u32 v11, s1, v4
	v_mul_lo_u32 v12, s0, v4
	v_add_u32_e32 v6, v8, v6
	v_add_u32_e32 v6, v6, v11
	v_mul_lo_u32 v15, v4, v6
	v_mul_hi_u32 v16, v4, v12
	v_mul_hi_u32 v17, v4, v6
	;; [unrolled: 1-line block ×3, first 2 shown]
	v_mul_lo_u32 v12, v5, v12
	v_mul_hi_u32 v8, v5, v6
	v_add_co_u32_e32 v15, vcc, v16, v15
	v_addc_co_u32_e32 v16, vcc, 0, v17, vcc
	v_mul_lo_u32 v6, v5, v6
	v_add_co_u32_e32 v12, vcc, v15, v12
	v_addc_co_u32_e32 v11, vcc, v16, v11, vcc
	v_addc_co_u32_e32 v8, vcc, 0, v8, vcc
	v_add_co_u32_e32 v6, vcc, v11, v6
	v_addc_co_u32_e32 v8, vcc, 0, v8, vcc
	v_add_co_u32_e32 v6, vcc, v4, v6
	v_addc_co_u32_e32 v8, vcc, v5, v8, vcc
	v_mad_u64_u32 v[4:5], s[0:1], v9, v8, 0
	v_mul_hi_u32 v11, v9, v6
	v_add_co_u32_e32 v15, vcc, v11, v4
	v_addc_co_u32_e32 v16, vcc, 0, v5, vcc
	v_mad_u64_u32 v[4:5], s[0:1], v10, v6, 0
	v_mad_u64_u32 v[11:12], s[0:1], v10, v8, 0
	v_add_co_u32_e32 v4, vcc, v15, v4
	v_addc_co_u32_e32 v4, vcc, v16, v5, vcc
	v_addc_co_u32_e32 v5, vcc, 0, v12, vcc
	v_add_co_u32_e32 v8, vcc, v4, v11
	v_addc_co_u32_e32 v6, vcc, 0, v5, vcc
	v_mul_lo_u32 v11, s25, v8
	v_mul_lo_u32 v12, s24, v6
	v_mad_u64_u32 v[4:5], s[0:1], s24, v8, 0
	v_add3_u32 v5, v5, v12, v11
	v_sub_u32_e32 v11, v10, v5
	v_mov_b32_e32 v12, s25
	v_sub_co_u32_e32 v4, vcc, v9, v4
	v_subb_co_u32_e64 v11, s[0:1], v11, v12, vcc
	v_subrev_co_u32_e64 v12, s[0:1], s24, v4
	v_subbrev_co_u32_e64 v11, s[0:1], 0, v11, s[0:1]
	v_cmp_le_u32_e64 s[0:1], s25, v11
	v_cndmask_b32_e64 v15, 0, -1, s[0:1]
	v_cmp_le_u32_e64 s[0:1], s24, v12
	v_cndmask_b32_e64 v12, 0, -1, s[0:1]
	v_cmp_eq_u32_e64 s[0:1], s25, v11
	v_cndmask_b32_e64 v11, v15, v12, s[0:1]
	v_add_co_u32_e64 v12, s[0:1], 2, v8
	v_addc_co_u32_e64 v15, s[0:1], 0, v6, s[0:1]
	v_add_co_u32_e64 v16, s[0:1], 1, v8
	v_addc_co_u32_e64 v17, s[0:1], 0, v6, s[0:1]
	v_subb_co_u32_e32 v5, vcc, v10, v5, vcc
	v_cmp_ne_u32_e64 s[0:1], 0, v11
	v_cmp_le_u32_e32 vcc, s25, v5
	v_cndmask_b32_e64 v11, v17, v15, s[0:1]
	v_cndmask_b32_e64 v15, 0, -1, vcc
	v_cmp_le_u32_e32 vcc, s24, v4
	v_cndmask_b32_e64 v4, 0, -1, vcc
	v_cmp_eq_u32_e32 vcc, s25, v5
	v_cndmask_b32_e32 v4, v15, v4, vcc
	v_cmp_ne_u32_e32 vcc, 0, v4
	v_cndmask_b32_e64 v4, v16, v12, s[0:1]
	v_cndmask_b32_e32 v6, v6, v11, vcc
	v_cndmask_b32_e32 v5, v8, v4, vcc
.LBB0_4:                                ;   in Loop: Header=BB0_2 Depth=1
	s_andn2_saveexec_b64 s[0:1], s[26:27]
	s_cbranch_execz .LBB0_6
; %bb.5:                                ;   in Loop: Header=BB0_2 Depth=1
	v_cvt_f32_u32_e32 v4, s24
	s_sub_i32 s26, 0, s24
	v_rcp_iflag_f32_e32 v4, v4
	v_mul_f32_e32 v4, 0x4f7ffffe, v4
	v_cvt_u32_f32_e32 v4, v4
	v_mul_lo_u32 v5, s26, v4
	v_mul_hi_u32 v5, v4, v5
	v_add_u32_e32 v4, v4, v5
	v_mul_hi_u32 v4, v9, v4
	v_mul_lo_u32 v5, v4, s24
	v_add_u32_e32 v6, 1, v4
	v_sub_u32_e32 v5, v9, v5
	v_subrev_u32_e32 v8, s24, v5
	v_cmp_le_u32_e32 vcc, s24, v5
	v_cndmask_b32_e32 v5, v5, v8, vcc
	v_cndmask_b32_e32 v4, v4, v6, vcc
	v_add_u32_e32 v6, 1, v4
	v_cmp_le_u32_e32 vcc, s24, v5
	v_cndmask_b32_e32 v5, v4, v6, vcc
	v_mov_b32_e32 v6, v7
.LBB0_6:                                ;   in Loop: Header=BB0_2 Depth=1
	s_or_b64 exec, exec, s[0:1]
	v_mul_lo_u32 v4, v6, s24
	v_mul_lo_u32 v8, v5, s25
	v_mad_u64_u32 v[11:12], s[0:1], v5, s24, 0
	s_load_dwordx2 s[0:1], s[6:7], 0x0
	s_load_dwordx2 s[24:25], s[2:3], 0x0
	v_add3_u32 v4, v12, v8, v4
	v_sub_co_u32_e32 v8, vcc, v9, v11
	v_subb_co_u32_e32 v4, vcc, v10, v4, vcc
	s_waitcnt lgkmcnt(0)
	v_mul_lo_u32 v9, s0, v4
	v_mul_lo_u32 v10, s1, v8
	v_mad_u64_u32 v[13:14], s[0:1], s0, v8, v[13:14]
	s_add_u32 s22, s22, 1
	s_addc_u32 s23, s23, 0
	s_add_u32 s2, s2, 8
	v_mul_lo_u32 v4, s24, v4
	v_mul_lo_u32 v11, s25, v8
	v_mad_u64_u32 v[1:2], s[0:1], s24, v8, v[1:2]
	v_add3_u32 v14, v10, v14, v9
	s_addc_u32 s3, s3, 0
	v_mov_b32_e32 v8, s14
	s_add_u32 s6, s6, 8
	v_mov_b32_e32 v9, s15
	s_addc_u32 s7, s7, 0
	v_cmp_ge_u64_e32 vcc, s[22:23], v[8:9]
	s_add_u32 s20, s20, 8
	v_add3_u32 v2, v11, v2, v4
	s_addc_u32 s21, s21, 0
	s_cbranch_vccnz .LBB0_8
; %bb.7:                                ;   in Loop: Header=BB0_2 Depth=1
	v_mov_b32_e32 v10, v6
	v_mov_b32_e32 v9, v5
	s_branch .LBB0_2
.LBB0_8:
	s_mov_b32 s2, 0xaaaaaaab
	s_load_dwordx2 s[0:1], s[4:5], 0x28
	v_mul_hi_u32 v4, v3, s2
	s_lshl_b64 s[6:7], s[14:15], 3
	s_add_u32 s2, s18, s6
	s_addc_u32 s3, s19, s7
	v_lshrrev_b32_e32 v4, 1, v4
	v_lshl_add_u32 v4, v4, 1, v4
	s_waitcnt lgkmcnt(0)
	v_cmp_gt_u64_e32 vcc, s[0:1], v[5:6]
	v_cmp_le_u64_e64 s[0:1], s[0:1], v[5:6]
	v_sub_u32_e32 v4, v3, v4
                                        ; implicit-def: $vgpr3
                                        ; implicit-def: $vgpr7
                                        ; implicit-def: $vgpr12
                                        ; implicit-def: $vgpr11
                                        ; implicit-def: $vgpr9
	s_and_saveexec_b64 s[4:5], s[0:1]
	s_xor_b64 s[0:1], exec, s[4:5]
; %bb.9:
	s_mov_b32 s4, 0x3531ded
	v_mul_hi_u32 v3, v0, s4
                                        ; implicit-def: $vgpr13_vgpr14
	v_mul_u32_u24_e32 v3, 0x4d, v3
	v_sub_u32_e32 v3, v0, v3
	v_add_u32_e32 v7, 0x4d, v3
	v_add_u32_e32 v12, 0x9a, v3
	;; [unrolled: 1-line block ×4, first 2 shown]
                                        ; implicit-def: $vgpr0
; %bb.10:
	s_or_saveexec_b64 s[4:5], s[0:1]
	v_mul_u32_u24_e32 v4, 0x437, v4
	v_lshlrev_b32_e32 v10, 2, v4
	s_xor_b64 exec, exec, s[4:5]
	s_cbranch_execz .LBB0_12
; %bb.11:
	s_add_u32 s0, s16, s6
	s_addc_u32 s1, s17, s7
	s_load_dwordx2 s[0:1], s[0:1], 0x0
	s_mov_b32 s6, 0x3531ded
	v_mul_hi_u32 v3, v0, s6
	s_waitcnt lgkmcnt(0)
	v_mul_lo_u32 v4, s1, v5
	v_mul_lo_u32 v9, s0, v6
	v_mad_u64_u32 v[7:8], s[0:1], s0, v5, 0
	v_mul_u32_u24_e32 v3, 0x4d, v3
	v_sub_u32_e32 v3, v0, v3
	v_add3_u32 v8, v8, v9, v4
	v_lshlrev_b64 v[7:8], 2, v[7:8]
	v_mov_b32_e32 v0, s9
	v_add_co_u32_e64 v4, s[0:1], s8, v7
	v_addc_co_u32_e64 v0, s[0:1], v0, v8, s[0:1]
	v_lshlrev_b64 v[7:8], 2, v[13:14]
	v_lshlrev_b32_e32 v13, 2, v3
	v_add_co_u32_e64 v4, s[0:1], v4, v7
	v_addc_co_u32_e64 v0, s[0:1], v0, v8, s[0:1]
	v_add_co_u32_e64 v7, s[0:1], v4, v13
	v_addc_co_u32_e64 v8, s[0:1], 0, v0, s[0:1]
	global_load_dword v0, v[7:8], off offset:1540
	global_load_dword v4, v[7:8], off offset:1848
	;; [unrolled: 1-line block ×3, first 2 shown]
	global_load_dword v15, v[7:8], off
	global_load_dword v16, v[7:8], off offset:308
	global_load_dword v17, v[7:8], off offset:616
	;; [unrolled: 1-line block ×10, first 2 shown]
	v_add3_u32 v8, 0, v10, v13
	v_add_u32_e32 v7, 0x4d, v3
	v_add_u32_e32 v12, 0x9a, v3
	;; [unrolled: 1-line block ×8, first 2 shown]
	s_waitcnt vmcnt(7)
	ds_write2_b32 v13, v18, v0 offset0:52 offset1:129
	ds_write2_b32 v26, v4, v14 offset0:78 offset1:155
	s_waitcnt vmcnt(4)
	ds_write2_b32 v27, v20, v21 offset0:104 offset1:181
	ds_write2_b32 v8, v15, v16 offset1:77
	ds_write2_b32 v8, v17, v19 offset0:154 offset1:231
	s_waitcnt vmcnt(2)
	ds_write2_b32 v28, v22, v23 offset0:2 offset1:79
	s_waitcnt vmcnt(0)
	ds_write2_b32 v28, v24, v25 offset0:156 offset1:233
.LBB0_12:
	s_or_b64 exec, exec, s[4:5]
	v_lshlrev_b32_e32 v4, 2, v3
	v_add3_u32 v8, 0, v4, v10
	v_add_u32_e32 v0, 0, v10
	v_add_u32_e32 v18, 0x800, v8
	s_load_dwordx2 s[2:3], s[2:3], 0x0
	s_waitcnt lgkmcnt(0)
	s_barrier
	v_add_u32_e32 v33, v0, v4
	ds_read2_b32 v[13:14], v18 offset0:27 offset1:104
	ds_read_b32 v15, v33
	ds_read_b32 v17, v8 offset:4004
	v_add_u32_e32 v20, 0xc00, v8
	v_add_u32_e32 v21, 0x200, v8
	v_lshl_add_u32 v32, v3, 3, v0
	s_waitcnt lgkmcnt(1)
	v_pk_add_f16 v13, v15, v13 neg_lo:[0,1] neg_hi:[0,1]
	v_lshrrev_b32_e32 v16, 16, v15
	v_lshrrev_b32_e32 v19, 16, v13
	v_fma_f16 v16, v16, 2.0, -v19
	v_fma_f16 v15, v15, 2.0, -v13
	v_lshlrev_b32_e32 v16, 16, v16
	v_or_b32_sdwa v15, v16, v15 dst_sel:DWORD dst_unused:UNUSED_PAD src0_sel:DWORD src1_sel:WORD_0
	v_add_u32_e32 v16, 0x400, v8
	v_add_u32_e32 v19, 0xa00, v8
	ds_read2_b32 v[22:23], v16 offset0:129 offset1:206
	ds_read2_b32 v[24:25], v20 offset0:79 offset1:156
	;; [unrolled: 1-line block ×5, first 2 shown]
	s_waitcnt lgkmcnt(0)
	s_barrier
	ds_write2_b32 v32, v15, v13 offset1:1
	v_pk_add_f16 v13, v30, v14 neg_lo:[0,1] neg_hi:[0,1]
	v_lshl_add_u32 v14, v7, 3, v0
	v_pk_fma_f16 v15, v30, 2.0, v13 op_sel_hi:[1,0,1] neg_lo:[0,0,1] neg_hi:[0,0,1]
	ds_write2_b32 v14, v15, v13 offset1:1
	v_pk_add_f16 v13, v31, v28 neg_lo:[0,1] neg_hi:[0,1]
	v_pk_fma_f16 v14, v31, 2.0, v13 op_sel_hi:[1,0,1] neg_lo:[0,0,1] neg_hi:[0,0,1]
	v_lshl_add_u32 v15, v12, 3, v0
	ds_write2_b32 v15, v14, v13 offset1:1
	v_pk_add_f16 v13, v26, v29 neg_lo:[0,1] neg_hi:[0,1]
	v_add_u32_e32 v14, 0x738, v32
	v_pk_fma_f16 v15, v26, 2.0, v13 op_sel_hi:[1,0,1] neg_lo:[0,0,1] neg_hi:[0,0,1]
	ds_write2_b32 v14, v15, v13 offset1:1
	v_pk_add_f16 v13, v27, v24 neg_lo:[0,1] neg_hi:[0,1]
	v_pk_fma_f16 v14, v27, 2.0, v13 op_sel_hi:[1,0,1] neg_lo:[0,0,1] neg_hi:[0,0,1]
	v_lshl_add_u32 v15, v11, 3, v0
	v_pk_add_f16 v35, v22, v25 neg_lo:[0,1] neg_hi:[0,1]
	ds_write2_b32 v15, v14, v13 offset1:1
	v_pk_add_f16 v14, v23, v17 neg_lo:[0,1] neg_hi:[0,1]
	v_pk_fma_f16 v15, v22, 2.0, v35 op_sel_hi:[1,0,1] neg_lo:[0,0,1] neg_hi:[0,0,1]
	v_add_u32_e32 v17, 0xc08, v32
	v_pk_fma_f16 v13, v23, 2.0, v14 op_sel_hi:[1,0,1] neg_lo:[0,0,1] neg_hi:[0,0,1]
	ds_write2_b32 v17, v15, v35 offset1:1
	v_lshl_add_u32 v15, v9, 3, v0
	ds_write2_b32 v15, v13, v14 offset1:1
	v_add_u32_e32 v15, 0x600, v8
	s_waitcnt lgkmcnt(0)
	s_barrier
	ds_read_b32 v45, v33
	ds_read2_b32 v[25:26], v15 offset0:106 offset1:204
	ds_read2_b32 v[23:24], v20 offset0:114 offset1:212
	;; [unrolled: 1-line block ×5, first 2 shown]
	v_cmp_gt_u32_e64 s[0:1], 21, v3
	v_lshrrev_b32_e32 v36, 16, v14
	v_lshlrev_b32_e32 v34, 2, v7
                                        ; implicit-def: $vgpr37
                                        ; implicit-def: $vgpr38
                                        ; implicit-def: $vgpr39
                                        ; implicit-def: $vgpr44
                                        ; implicit-def: $vgpr43
                                        ; implicit-def: $vgpr42
                                        ; implicit-def: $vgpr41
                                        ; implicit-def: $vgpr40
                                        ; implicit-def: $vgpr15
                                        ; implicit-def: $vgpr17
                                        ; implicit-def: $vgpr22
                                        ; implicit-def: $vgpr20
	s_and_saveexec_b64 s[4:5], s[0:1]
	s_cbranch_execz .LBB0_14
; %bb.13:
	ds_read2_b32 v[13:14], v21 offset0:47 offset1:145
	ds_read2_b32 v[15:16], v16 offset0:115 offset1:213
	v_add3_u32 v17, 0, v34, v10
	v_add_u32_e32 v21, 0xe00, v8
	ds_read_b32 v35, v17
	ds_read2_b32 v[17:18], v18 offset0:55 offset1:153
	ds_read2_b32 v[19:20], v19 offset0:123 offset1:221
	;; [unrolled: 1-line block ×3, first 2 shown]
	s_waitcnt lgkmcnt(5)
	v_lshrrev_b32_e32 v36, 16, v14
	s_waitcnt lgkmcnt(4)
	v_lshrrev_b32_e32 v37, 16, v15
	v_lshrrev_b32_e32 v38, 16, v16
	s_waitcnt lgkmcnt(2)
	v_lshrrev_b32_e32 v39, 16, v17
	;; [unrolled: 3-line block ×4, first 2 shown]
	v_lshrrev_b32_e32 v44, 16, v22
.LBB0_14:
	s_or_b64 exec, exec, s[4:5]
	v_and_b32_e32 v56, 1, v3
	v_mul_u32_u24_e32 v46, 10, v56
	v_lshlrev_b32_e32 v57, 2, v46
	global_load_dwordx4 v[46:49], v57, s[12:13]
	global_load_dwordx4 v[50:53], v57, s[12:13] offset:16
	global_load_dwordx2 v[54:55], v57, s[12:13] offset:32
	s_waitcnt lgkmcnt(2)
	v_lshrrev_b32_e32 v59, 16, v31
	v_lshrrev_b32_e32 v57, 16, v23
	;; [unrolled: 1-line block ×4, first 2 shown]
	s_waitcnt lgkmcnt(1)
	v_lshrrev_b32_e32 v61, 16, v29
	v_lshrrev_b32_e32 v62, 16, v30
	;; [unrolled: 1-line block ×4, first 2 shown]
	s_waitcnt lgkmcnt(0)
	v_lshrrev_b32_e32 v65, 16, v27
	v_lshrrev_b32_e32 v66, 16, v28
	s_movk_i32 s7, 0x36a6
	s_movk_i32 s6, 0x3abb
	s_mov_b32 s8, 0xb08e
	s_mov_b32 s9, 0xb93d
	;; [unrolled: 1-line block ×3, first 2 shown]
	s_waitcnt vmcnt(0)
	s_barrier
	v_mul_f16_sdwa v67, v46, v59 dst_sel:DWORD dst_unused:UNUSED_PAD src0_sel:WORD_1 src1_sel:DWORD
	v_mul_f16_sdwa v68, v46, v31 dst_sel:DWORD dst_unused:UNUSED_PAD src0_sel:WORD_1 src1_sel:DWORD
	;; [unrolled: 1-line block ×4, first 2 shown]
	v_mul_f16_sdwa v83, v57, v54 dst_sel:DWORD dst_unused:UNUSED_PAD src0_sel:DWORD src1_sel:WORD_1
	v_mul_f16_sdwa v84, v23, v54 dst_sel:DWORD dst_unused:UNUSED_PAD src0_sel:DWORD src1_sel:WORD_1
	;; [unrolled: 1-line block ×4, first 2 shown]
	v_fma_f16 v31, v46, v31, -v67
	v_fma_f16 v46, v46, v59, v68
	v_mul_f16_sdwa v71, v48, v61 dst_sel:DWORD dst_unused:UNUSED_PAD src0_sel:WORD_1 src1_sel:DWORD
	v_mul_f16_sdwa v72, v48, v29 dst_sel:DWORD dst_unused:UNUSED_PAD src0_sel:WORD_1 src1_sel:DWORD
	v_fma_f16 v32, v47, v32, -v69
	v_fma_f16 v47, v47, v60, v70
	v_fma_f16 v23, v23, v54, -v83
	v_fma_f16 v54, v57, v54, v84
	;; [unrolled: 2-line block ×3, first 2 shown]
	v_add_f16_e32 v57, v31, v45
	v_add_f16_sdwa v58, v46, v45 dst_sel:DWORD dst_unused:UNUSED_PAD src0_sel:DWORD src1_sel:WORD_1
	v_mul_f16_sdwa v73, v49, v62 dst_sel:DWORD dst_unused:UNUSED_PAD src0_sel:WORD_1 src1_sel:DWORD
	v_mul_f16_sdwa v74, v49, v30 dst_sel:DWORD dst_unused:UNUSED_PAD src0_sel:WORD_1 src1_sel:DWORD
	v_fma_f16 v29, v48, v29, -v71
	v_fma_f16 v48, v48, v61, v72
	v_add_f16_e32 v57, v57, v32
	v_add_f16_e32 v58, v58, v47
	v_mul_f16_sdwa v75, v50, v63 dst_sel:DWORD dst_unused:UNUSED_PAD src0_sel:WORD_1 src1_sel:DWORD
	v_mul_f16_sdwa v76, v50, v25 dst_sel:DWORD dst_unused:UNUSED_PAD src0_sel:WORD_1 src1_sel:DWORD
	v_fma_f16 v30, v49, v30, -v73
	v_fma_f16 v49, v49, v62, v74
	v_add_f16_e32 v57, v57, v29
	v_add_f16_e32 v58, v58, v48
	;; [unrolled: 6-line block ×5, first 2 shown]
	v_fma_f16 v28, v53, v28, -v81
	v_fma_f16 v53, v53, v66, v82
	v_add_f16_e32 v57, v57, v27
	v_add_f16_e32 v58, v58, v52
	;; [unrolled: 1-line block ×5, first 2 shown]
	v_sub_f16_e32 v46, v46, v55
	v_add_f16_e32 v57, v57, v23
	v_add_f16_e32 v58, v58, v54
	;; [unrolled: 1-line block ×3, first 2 shown]
	v_sub_f16_e32 v31, v31, v24
	v_mul_f16_e32 v63, 0xbb47, v46
	v_add_f16_e32 v24, v57, v24
	v_add_f16_sdwa v55, v58, v55 dst_sel:WORD_1 dst_unused:UNUSED_PAD src0_sel:DWORD src1_sel:DWORD
	v_mul_f16_e32 v61, 0xb853, v46
	v_mul_f16_e32 v62, 0xb853, v31
	v_fma_f16 v66, v59, s7, -v63
	v_or_b32_e32 v24, v55, v24
	v_mul_f16_e32 v55, 0xbb47, v31
	v_fma_f16 v58, v59, s7, v63
	v_mul_f16_e32 v63, 0xbbeb, v46
	v_mul_f16_e32 v68, 0xbbeb, v31
	;; [unrolled: 1-line block ×6, first 2 shown]
	v_fma_f16 v64, v59, s6, -v61
	v_fma_f16 v65, v60, s6, v62
	v_fma_f16 v61, v59, s6, v61
	v_fma_f16 v62, v60, s6, -v62
	v_fma_f16 v57, v60, s7, v55
	v_fma_f16 v55, v60, s7, -v55
	v_fma_f16 v67, v59, s8, -v63
	v_fma_f16 v69, v60, s8, v68
	v_fma_f16 v63, v59, s8, v63
	v_fma_f16 v68, v60, s8, -v68
	v_fma_f16 v71, v59, s9, -v70
	v_fma_f16 v73, v60, s9, v72
	;; [unrolled: 4-line block ×3, first 2 shown]
	v_fma_f16 v46, v59, s14, v46
	v_fma_f16 v31, v60, s14, -v31
	v_add_f16_e32 v64, v64, v45
	v_add_f16_sdwa v65, v65, v45 dst_sel:DWORD dst_unused:UNUSED_PAD src0_sel:DWORD src1_sel:WORD_1
	v_add_f16_e32 v61, v61, v45
	v_add_f16_sdwa v62, v62, v45 dst_sel:DWORD dst_unused:UNUSED_PAD src0_sel:DWORD src1_sel:WORD_1
	;; [unrolled: 2-line block ×10, first 2 shown]
	v_add_f16_e32 v45, v32, v23
	v_sub_f16_e32 v23, v32, v23
	v_sub_f16_e32 v32, v47, v54
	v_add_f16_e32 v59, v47, v54
	v_mul_f16_e32 v47, 0xbb47, v32
	v_fma_f16 v54, v45, s7, -v47
	v_mul_f16_e32 v60, 0xbb47, v23
	v_fma_f16 v47, v45, s7, v47
	v_add_f16_e32 v54, v54, v64
	v_fma_f16 v64, v59, s7, v60
	v_add_f16_e32 v47, v47, v61
	v_fma_f16 v60, v59, s7, -v60
	v_mul_f16_e32 v61, 0xba0c, v32
	v_add_f16_e32 v64, v64, v65
	v_add_f16_e32 v60, v60, v62
	v_fma_f16 v62, v45, s9, -v61
	v_mul_f16_e32 v65, 0xba0c, v23
	v_fma_f16 v61, v45, s9, v61
	v_add_f16_e32 v58, v61, v58
	v_fma_f16 v61, v59, s9, -v65
	v_add_f16_e32 v62, v62, v66
	v_fma_f16 v66, v59, s9, v65
	v_add_f16_e32 v55, v61, v55
	v_mul_f16_e32 v61, 0x3482, v32
	v_add_f16_e32 v57, v66, v57
	v_fma_f16 v65, v45, s14, -v61
	v_mul_f16_e32 v66, 0x3482, v23
	v_fma_f16 v61, v45, s14, v61
	v_add_f16_e32 v65, v65, v67
	v_fma_f16 v67, v59, s14, v66
	v_add_f16_e32 v61, v61, v63
	v_fma_f16 v63, v59, s14, -v66
	v_mul_f16_e32 v66, 0x3beb, v32
	v_add_f16_e32 v67, v67, v69
	v_add_f16_e32 v63, v63, v68
	v_fma_f16 v68, v45, s8, -v66
	v_mul_f16_e32 v69, 0x3beb, v23
	v_add_f16_e32 v68, v68, v71
	v_fma_f16 v71, v59, s8, v69
	v_fma_f16 v69, v59, s8, -v69
	v_mul_f16_e32 v23, 0x3853, v23
	v_fma_f16 v66, v45, s8, v66
	v_add_f16_e32 v69, v69, v72
	v_mul_f16_e32 v32, 0x3853, v32
	v_fma_f16 v72, v59, s6, v23
	v_fma_f16 v23, v59, s6, -v23
	v_add_f16_e32 v66, v66, v70
	v_fma_f16 v70, v45, s6, -v32
	v_fma_f16 v32, v45, s6, v32
	v_add_f16_e32 v23, v23, v31
	v_add_f16_e32 v31, v29, v28
	v_sub_f16_e32 v28, v29, v28
	v_sub_f16_e32 v29, v48, v53
	v_add_f16_e32 v32, v32, v46
	v_mul_f16_e32 v46, 0xbbeb, v29
	v_add_f16_e32 v45, v48, v53
	v_fma_f16 v48, v31, s8, -v46
	v_mul_f16_e32 v53, 0xbbeb, v28
	v_fma_f16 v46, v31, s8, v46
	v_add_f16_e32 v48, v48, v54
	v_fma_f16 v54, v45, s8, v53
	v_add_f16_e32 v46, v46, v47
	v_fma_f16 v47, v45, s8, -v53
	v_mul_f16_e32 v53, 0x3482, v29
	v_add_f16_e32 v47, v47, v60
	v_fma_f16 v59, v31, s14, -v53
	v_mul_f16_e32 v60, 0x3482, v28
	v_fma_f16 v53, v31, s14, v53
	v_add_f16_e32 v53, v53, v58
	v_fma_f16 v58, v45, s14, -v60
	v_add_f16_e32 v59, v59, v62
	v_fma_f16 v62, v45, s14, v60
	v_add_f16_e32 v55, v58, v55
	v_mul_f16_e32 v58, 0x3b47, v29
	v_add_f16_e32 v57, v62, v57
	v_fma_f16 v60, v31, s7, -v58
	v_mul_f16_e32 v62, 0x3b47, v28
	v_fma_f16 v58, v31, s7, v58
	v_add_f16_e32 v54, v54, v64
	v_fma_f16 v64, v45, s7, v62
	v_add_f16_e32 v58, v58, v61
	v_fma_f16 v61, v45, s7, -v62
	v_mul_f16_e32 v62, 0xb853, v29
	v_add_f16_e32 v60, v60, v65
	v_add_f16_e32 v61, v61, v63
	v_fma_f16 v63, v31, s6, -v62
	v_mul_f16_e32 v65, 0xb853, v28
	v_mul_f16_e32 v28, 0xba0c, v28
	v_add_f16_e32 v63, v63, v68
	v_fma_f16 v62, v31, s6, v62
	v_mul_f16_e32 v29, 0xba0c, v29
	v_fma_f16 v68, v45, s9, v28
	v_fma_f16 v28, v45, s9, -v28
	v_add_f16_e32 v62, v62, v66
	v_fma_f16 v66, v31, s9, -v29
	v_fma_f16 v29, v31, s9, v29
	v_add_f16_e32 v23, v28, v23
	v_add_f16_e32 v28, v30, v27
	v_sub_f16_e32 v27, v30, v27
	v_sub_f16_e32 v30, v49, v52
	v_add_f16_e32 v29, v29, v32
	v_mul_f16_e32 v32, 0xba0c, v30
	v_add_f16_e32 v64, v64, v67
	v_fma_f16 v67, v45, s6, v65
	v_fma_f16 v65, v45, s6, -v65
	v_fma_f16 v45, v28, s9, -v32
	v_add_f16_e32 v31, v49, v52
	v_add_f16_e32 v45, v45, v48
	v_mul_f16_e32 v48, 0xba0c, v27
	v_fma_f16 v32, v28, s9, v32
	v_fma_f16 v49, v31, s9, v48
	v_add_f16_e32 v32, v32, v46
	v_fma_f16 v46, v31, s9, -v48
	v_mul_f16_e32 v52, 0x3beb, v27
	v_add_f16_e32 v49, v49, v54
	v_add_f16_e32 v46, v46, v47
	v_mul_f16_e32 v47, 0x3beb, v30
	v_fma_f16 v54, v31, s8, v52
	v_fma_f16 v48, v28, s8, -v47
	v_add_f16_e32 v54, v54, v57
	v_fma_f16 v47, v28, s8, v47
	v_mul_f16_e32 v57, 0xb853, v27
	v_add_f16_e32 v48, v48, v59
	v_add_f16_e32 v47, v47, v53
	v_fma_f16 v52, v31, s8, -v52
	v_mul_f16_e32 v53, 0xb853, v30
	v_fma_f16 v59, v31, s6, v57
	v_fma_f16 v57, v31, s6, -v57
	v_add_f16_e32 v52, v52, v55
	v_fma_f16 v55, v28, s6, -v53
	v_fma_f16 v53, v28, s6, v53
	v_add_f16_e32 v57, v57, v61
	v_mul_f16_e32 v61, 0xb482, v27
	v_mul_f16_e32 v27, 0x3b47, v27
	v_add_f16_e32 v59, v59, v64
	v_add_f16_e32 v53, v53, v58
	v_mul_f16_e32 v58, 0xb482, v30
	v_fma_f16 v64, v31, s7, v27
	v_fma_f16 v27, v31, s7, -v27
	v_add_f16_e32 v55, v55, v60
	v_fma_f16 v60, v28, s14, -v58
	v_fma_f16 v58, v28, s14, v58
	v_mul_f16_e32 v30, 0x3b47, v30
	v_add_f16_e32 v23, v27, v23
	v_add_f16_e32 v27, v25, v26
	v_sub_f16_e32 v25, v25, v26
	v_sub_f16_e32 v26, v50, v51
	v_add_f16_e32 v58, v58, v62
	v_fma_f16 v62, v28, s7, -v30
	v_fma_f16 v28, v28, s7, v30
	v_mul_f16_e32 v30, 0xb482, v26
	v_add_f16_e32 v60, v60, v63
	v_fma_f16 v63, v31, s14, v61
	v_fma_f16 v61, v31, s14, -v61
	v_fma_f16 v31, v27, s14, -v30
	v_add_f16_e32 v28, v28, v29
	v_add_f16_e32 v29, v50, v51
	;; [unrolled: 1-line block ×3, first 2 shown]
	v_mul_f16_e32 v45, 0xb482, v25
	v_fma_f16 v30, v27, s14, v30
	v_fma_f16 v50, v29, s14, v45
	v_add_f16_e32 v30, v30, v32
	v_fma_f16 v32, v29, s14, -v45
	v_mul_f16_e32 v45, 0x3853, v26
	v_add_f16_e32 v32, v32, v46
	v_fma_f16 v46, v27, s6, -v45
	v_add_f16_e32 v46, v46, v48
	v_mul_f16_e32 v48, 0x3853, v25
	v_fma_f16 v45, v27, s6, v45
	v_add_f16_e32 v49, v50, v49
	v_fma_f16 v50, v29, s6, v48
	v_add_f16_e32 v45, v45, v47
	v_fma_f16 v47, v29, s6, -v48
	v_mul_f16_e32 v48, 0xba0c, v26
	v_add_f16_e32 v47, v47, v52
	v_fma_f16 v51, v27, s9, -v48
	v_mul_f16_e32 v52, 0xba0c, v25
	v_fma_f16 v48, v27, s9, v48
	v_add_f16_e32 v50, v50, v54
	v_fma_f16 v54, v29, s9, v52
	v_add_f16_e32 v48, v48, v53
	v_fma_f16 v52, v29, s9, -v52
	v_mul_f16_e32 v53, 0x3b47, v26
	v_add_f16_e32 v51, v51, v55
	v_add_f16_e32 v52, v52, v57
	v_fma_f16 v55, v27, s7, -v53
	v_mul_f16_e32 v57, 0x3b47, v25
	v_mul_f16_e32 v25, 0xbbeb, v25
	v_add_f16_e32 v55, v55, v60
	v_fma_f16 v60, v29, s8, v25
	v_fma_f16 v25, v29, s8, -v25
	v_add_f16_e32 v23, v25, v23
	v_lshrrev_b32_e32 v25, 1, v3
	v_mul_u32_u24_e32 v25, 22, v25
	v_add_f16_e32 v71, v71, v73
	v_add_f16_e32 v70, v70, v74
	;; [unrolled: 1-line block ×3, first 2 shown]
	v_or_b32_e32 v25, v25, v56
	v_add_f16_e32 v67, v67, v71
	v_add_f16_e32 v66, v66, v70
	;; [unrolled: 1-line block ×3, first 2 shown]
	v_fma_f16 v53, v27, s7, v53
	v_mul_f16_e32 v26, 0xbbeb, v26
	v_lshlrev_b32_e32 v25, 2, v25
	v_add_f16_e32 v65, v65, v69
	v_add_f16_e32 v63, v63, v67
	;; [unrolled: 1-line block ×5, first 2 shown]
	v_fma_f16 v59, v29, s7, v57
	v_add_f16_e32 v53, v53, v58
	v_fma_f16 v58, v27, s8, -v26
	v_fma_f16 v26, v27, s8, v26
	v_add3_u32 v25, 0, v25, v10
	v_pack_b32_f16 v27, v31, v49
	v_add_f16_e32 v61, v61, v65
	v_add_f16_e32 v59, v59, v63
	v_fma_f16 v57, v29, s7, -v57
	v_add_f16_e32 v58, v58, v62
	v_add_f16_e32 v60, v60, v64
	ds_write2_b32 v25, v24, v27 offset1:2
	v_pack_b32_f16 v24, v46, v50
	v_pack_b32_f16 v27, v51, v54
	v_add_f16_e32 v57, v57, v61
	v_add_f16_e32 v26, v26, v28
	ds_write2_b32 v25, v24, v27 offset0:4 offset1:6
	v_pack_b32_f16 v24, v55, v59
	v_pack_b32_f16 v27, v58, v60
	ds_write2_b32 v25, v24, v27 offset0:8 offset1:10
	v_pack_b32_f16 v23, v26, v23
	v_pack_b32_f16 v24, v53, v57
	;; [unrolled: 3-line block ×3, first 2 shown]
	ds_write2_b32 v25, v23, v24 offset0:16 offset1:18
	v_pack_b32_f16 v23, v30, v32
	ds_write_b32 v25, v23 offset:80
	s_and_saveexec_b64 s[4:5], s[0:1]
	s_cbranch_execz .LBB0_16
; %bb.15:
	v_and_b32_e32 v45, 1, v7
	v_mul_u32_u24_e32 v23, 10, v45
	v_lshlrev_b32_e32 v46, 2, v23
	global_load_dwordx4 v[23:26], v46, s[12:13]
	global_load_dwordx2 v[31:32], v46, s[12:13] offset:32
	global_load_dwordx4 v[27:30], v46, s[12:13] offset:16
	v_lshrrev_b32_e32 v46, 16, v13
	s_waitcnt vmcnt(2)
	v_mul_f16_sdwa v47, v46, v23 dst_sel:DWORD dst_unused:UNUSED_PAD src0_sel:DWORD src1_sel:WORD_1
	s_waitcnt vmcnt(1)
	v_mul_f16_sdwa v48, v44, v32 dst_sel:DWORD dst_unused:UNUSED_PAD src0_sel:DWORD src1_sel:WORD_1
	v_mul_f16_sdwa v49, v22, v32 dst_sel:DWORD dst_unused:UNUSED_PAD src0_sel:DWORD src1_sel:WORD_1
	;; [unrolled: 1-line block ×6, first 2 shown]
	v_fma_f16 v13, v13, v23, -v47
	v_fma_f16 v22, v22, v32, -v48
	v_mul_f16_sdwa v53, v21, v31 dst_sel:DWORD dst_unused:UNUSED_PAD src0_sel:DWORD src1_sel:WORD_1
	v_mul_f16_sdwa v55, v37, v25 dst_sel:DWORD dst_unused:UNUSED_PAD src0_sel:DWORD src1_sel:WORD_1
	s_waitcnt vmcnt(0)
	v_mul_f16_sdwa v56, v42, v30 dst_sel:DWORD dst_unused:UNUSED_PAD src0_sel:DWORD src1_sel:WORD_1
	v_mul_f16_sdwa v58, v15, v25 dst_sel:DWORD dst_unused:UNUSED_PAD src0_sel:DWORD src1_sel:WORD_1
	;; [unrolled: 1-line block ×4, first 2 shown]
	v_fma_f16 v32, v44, v32, v49
	v_fma_f16 v23, v46, v23, v50
	v_fma_f16 v14, v14, v24, -v51
	v_fma_f16 v21, v21, v31, -v52
	v_fma_f16 v24, v36, v24, v54
	v_sub_f16_e32 v36, v13, v22
	v_mul_f16_sdwa v57, v20, v30 dst_sel:DWORD dst_unused:UNUSED_PAD src0_sel:DWORD src1_sel:WORD_1
	v_mul_f16_sdwa v60, v41, v29 dst_sel:DWORD dst_unused:UNUSED_PAD src0_sel:DWORD src1_sel:WORD_1
	;; [unrolled: 1-line block ×7, first 2 shown]
	v_fma_f16 v31, v43, v31, v53
	v_fma_f16 v15, v15, v25, -v55
	v_fma_f16 v20, v20, v30, -v56
	v_fma_f16 v25, v37, v25, v58
	v_fma_f16 v16, v16, v26, -v59
	v_fma_f16 v26, v38, v26, v62
	v_add_f16_e32 v37, v23, v32
	v_sub_f16_e32 v38, v14, v21
	v_sub_f16_e32 v48, v23, v32
	v_mul_f16_e32 v56, 0xb482, v36
	v_fma_f16 v30, v42, v30, v57
	v_fma_f16 v19, v19, v29, -v60
	v_fma_f16 v29, v41, v29, v61
	v_fma_f16 v17, v17, v27, -v63
	v_fma_f16 v18, v18, v28, -v64
	v_fma_f16 v28, v40, v28, v65
	v_fma_f16 v27, v39, v27, v66
	v_add_f16_e32 v39, v24, v31
	v_sub_f16_e32 v40, v15, v20
	v_add_f16_e32 v47, v13, v22
	v_sub_f16_e32 v50, v24, v31
	v_mul_f16_e32 v57, 0x3853, v38
	v_mul_f16_e32 v61, 0xb482, v48
	v_fma_f16 v65, v37, s14, v56
	v_add_f16_e32 v41, v25, v30
	v_sub_f16_e32 v42, v16, v19
	v_add_f16_e32 v49, v14, v21
	v_sub_f16_e32 v52, v25, v30
	v_mul_f16_e32 v58, 0xba0c, v40
	v_mul_f16_e32 v62, 0x3853, v50
	v_fma_f16 v66, v39, s6, v57
	v_fma_f16 v70, v47, s14, -v61
	v_add_f16_sdwa v65, v35, v65 dst_sel:DWORD dst_unused:UNUSED_PAD src0_sel:WORD_1 src1_sel:DWORD
	v_add_f16_e32 v43, v26, v29
	v_sub_f16_e32 v44, v17, v18
	v_add_f16_e32 v51, v15, v20
	v_sub_f16_e32 v54, v26, v29
	v_mul_f16_e32 v59, 0x3b47, v42
	v_mul_f16_e32 v63, 0xba0c, v52
	v_fma_f16 v67, v41, s9, v58
	v_fma_f16 v71, v49, s6, -v62
	v_add_f16_e32 v70, v35, v70
	v_add_f16_e32 v65, v66, v65
	;; [unrolled: 1-line block ×4, first 2 shown]
	v_mul_f16_e32 v60, 0xbbeb, v44
	v_mul_f16_e32 v64, 0x3b47, v54
	v_fma_f16 v68, v43, s7, v59
	v_fma_f16 v72, v51, s9, -v63
	v_add_f16_e32 v66, v71, v70
	v_add_f16_e32 v65, v67, v65
	v_sub_f16_e32 v67, v27, v28
	v_add_f16_e32 v55, v17, v18
	v_fma_f16 v69, v46, s8, v60
	v_fma_f16 v73, v53, s7, -v64
	v_add_f16_e32 v66, v72, v66
	v_add_f16_e32 v65, v68, v65
	v_mul_f16_e32 v68, 0xbbeb, v67
	v_add_f16_e32 v66, v73, v66
	v_add_f16_e32 v65, v69, v65
	v_fma_f16 v69, v55, s8, -v68
	v_add_f16_e32 v66, v69, v66
	v_mul_f16_e32 v69, 0xba0c, v36
	v_fma_f16 v70, v37, s9, v69
	v_mul_f16_e32 v71, 0x3beb, v38
	v_add_f16_sdwa v70, v35, v70 dst_sel:DWORD dst_unused:UNUSED_PAD src0_sel:WORD_1 src1_sel:DWORD
	v_fma_f16 v72, v39, s8, v71
	v_add_f16_e32 v70, v72, v70
	v_mul_f16_e32 v72, 0xb853, v40
	v_fma_f16 v73, v41, s6, v72
	v_add_f16_e32 v70, v73, v70
	v_mul_f16_e32 v73, 0xb482, v42
	;; [unrolled: 3-line block ×4, first 2 shown]
	v_fma_f16 v76, v47, s9, -v75
	v_mul_f16_e32 v77, 0x3beb, v50
	v_add_f16_e32 v76, v35, v76
	v_fma_f16 v78, v49, s8, -v77
	v_add_f16_e32 v76, v78, v76
	v_mul_f16_e32 v78, 0xb853, v52
	v_add_f16_e32 v13, v35, v13
	v_fma_f16 v79, v51, s6, -v78
	v_add_f16_e32 v13, v13, v14
	v_add_f16_e32 v76, v79, v76
	v_mul_f16_e32 v79, 0xb482, v54
	v_add_f16_e32 v13, v13, v15
	v_fma_f16 v15, v37, s14, -v56
	v_fma_f16 v80, v53, s14, -v79
	v_add_f16_e32 v13, v13, v16
	v_add_f16_sdwa v15, v35, v15 dst_sel:DWORD dst_unused:UNUSED_PAD src0_sel:WORD_1 src1_sel:DWORD
	v_fma_f16 v16, v39, s6, -v57
	v_add_f16_e32 v76, v80, v76
	v_mul_f16_e32 v80, 0x3b47, v67
	v_add_f16_e32 v15, v16, v15
	v_fma_f16 v16, v41, s9, -v58
	v_fma_f16 v81, v55, s7, -v80
	v_add_f16_e32 v15, v16, v15
	v_fma_f16 v16, v43, s7, -v59
	v_add_f16_e32 v76, v81, v76
	v_mul_f16_e32 v81, 0xbbeb, v36
	v_add_f16_e32 v15, v16, v15
	v_fma_f16 v16, v46, s8, -v60
	v_fma_f16 v82, v37, s8, v81
	v_mul_f16_e32 v83, 0x3482, v38
	v_add_f16_e32 v15, v16, v15
	v_fma_f16 v16, v47, s14, v61
	v_add_f16_sdwa v82, v35, v82 dst_sel:DWORD dst_unused:UNUSED_PAD src0_sel:WORD_1 src1_sel:DWORD
	v_fma_f16 v84, v39, s14, v83
	v_add_f16_e32 v13, v13, v17
	v_add_f16_e32 v16, v35, v16
	v_fma_f16 v17, v49, s6, v62
	v_add_f16_e32 v82, v84, v82
	v_mul_f16_e32 v84, 0x3b47, v40
	v_add_f16_e32 v16, v17, v16
	v_fma_f16 v17, v51, s9, v63
	v_fma_f16 v85, v41, s7, v84
	v_add_f16_e32 v16, v17, v16
	v_fma_f16 v17, v53, s7, v64
	v_add_f16_e32 v82, v85, v82
	v_mul_f16_e32 v85, 0xb853, v42
	v_add_f16_e32 v16, v17, v16
	v_fma_f16 v17, v55, s8, v68
	v_fma_f16 v86, v43, s6, v85
	v_add_f16_e32 v16, v17, v16
	v_fma_f16 v17, v37, s9, -v69
	v_add_f16_e32 v82, v86, v82
	v_mul_f16_e32 v86, 0xba0c, v44
	v_add_f16_e32 v13, v13, v18
	v_add_f16_sdwa v17, v35, v17 dst_sel:DWORD dst_unused:UNUSED_PAD src0_sel:WORD_1 src1_sel:DWORD
	v_fma_f16 v18, v39, s8, -v71
	v_fma_f16 v87, v46, s9, v86
	v_add_f16_e32 v17, v18, v17
	v_fma_f16 v18, v41, s6, -v72
	v_add_f16_e32 v82, v87, v82
	v_mul_f16_e32 v87, 0xbbeb, v48
	v_add_f16_e32 v17, v18, v17
	v_fma_f16 v18, v43, s14, -v73
	v_fma_f16 v88, v47, s8, -v87
	v_mul_f16_e32 v89, 0x3482, v50
	v_add_f16_e32 v17, v18, v17
	v_fma_f16 v18, v46, s7, -v74
	v_add_f16_e32 v88, v35, v88
	v_fma_f16 v90, v49, s14, -v89
	v_add_f16_e32 v17, v18, v17
	v_fma_f16 v18, v47, s9, v75
	v_add_f16_e32 v88, v90, v88
	v_mul_f16_e32 v90, 0x3b47, v52
	v_add_f16_e32 v13, v13, v19
	v_add_f16_e32 v18, v35, v18
	v_fma_f16 v19, v49, s8, v77
	v_fma_f16 v91, v51, s7, -v90
	v_add_f16_e32 v18, v19, v18
	v_fma_f16 v19, v51, s6, v78
	v_add_f16_e32 v88, v91, v88
	v_mul_f16_e32 v91, 0xb853, v54
	v_add_f16_e32 v18, v19, v18
	v_fma_f16 v19, v53, s14, v79
	v_fma_f16 v92, v53, s6, -v91
	v_add_f16_e32 v18, v19, v18
	v_fma_f16 v19, v55, s7, v80
	v_add_f16_e32 v88, v92, v88
	v_mul_f16_e32 v92, 0xba0c, v67
	v_add_f16_e32 v18, v19, v18
	v_fma_f16 v19, v37, s8, -v81
	v_fma_f16 v93, v55, s9, -v92
	v_add_f16_e32 v13, v13, v20
	v_add_f16_sdwa v19, v35, v19 dst_sel:DWORD dst_unused:UNUSED_PAD src0_sel:WORD_1 src1_sel:DWORD
	v_fma_f16 v20, v39, s14, -v83
	v_add_f16_e32 v88, v93, v88
	v_mul_f16_e32 v93, 0xbb47, v36
	v_add_f16_e32 v19, v20, v19
	v_fma_f16 v20, v41, s7, -v84
	v_fma_f16 v94, v37, s7, v93
	v_mul_f16_e32 v95, 0xba0c, v38
	v_add_f16_e32 v19, v20, v19
	v_fma_f16 v20, v43, s6, -v85
	v_add_f16_sdwa v94, v35, v94 dst_sel:DWORD dst_unused:UNUSED_PAD src0_sel:WORD_1 src1_sel:DWORD
	v_fma_f16 v96, v39, s9, v95
	v_add_f16_e32 v19, v20, v19
	v_fma_f16 v20, v46, s9, -v86
	v_add_f16_e32 v94, v96, v94
	v_mul_f16_e32 v96, 0x3482, v40
	v_add_f16_e32 v19, v20, v19
	v_fma_f16 v20, v47, s8, v87
	v_fma_f16 v97, v41, s14, v96
	v_add_f16_e32 v13, v13, v21
	v_add_f16_e32 v20, v35, v20
	v_fma_f16 v21, v49, s14, v89
	v_add_f16_e32 v94, v97, v94
	v_mul_f16_e32 v97, 0x3beb, v42
	v_add_f16_e32 v20, v21, v20
	v_fma_f16 v21, v51, s7, v90
	v_fma_f16 v98, v43, s8, v97
	v_add_f16_e32 v20, v21, v20
	v_fma_f16 v21, v53, s6, v91
	v_add_f16_e32 v94, v98, v94
	v_mul_f16_e32 v98, 0x3853, v44
	v_add_f16_e32 v20, v21, v20
	v_fma_f16 v21, v55, s9, v92
	v_fma_f16 v99, v46, s6, v98
	v_add_f16_e32 v20, v21, v20
	v_fma_f16 v21, v37, s7, -v93
	v_add_f16_e32 v94, v99, v94
	v_mul_f16_e32 v99, 0xbb47, v48
	v_add_f16_e32 v13, v13, v22
	v_add_f16_sdwa v21, v35, v21 dst_sel:DWORD dst_unused:UNUSED_PAD src0_sel:WORD_1 src1_sel:DWORD
	v_fma_f16 v22, v39, s9, -v95
	v_fma_f16 v100, v47, s7, -v99
	v_mul_f16_e32 v101, 0xba0c, v50
	v_add_f16_e32 v21, v22, v21
	v_fma_f16 v22, v41, s14, -v96
	v_add_f16_e32 v100, v35, v100
	v_fma_f16 v102, v49, s9, -v101
	;; [unrolled: 2-line block ×3, first 2 shown]
	v_add_f16_e32 v100, v102, v100
	v_mul_f16_e32 v102, 0x3482, v52
	v_add_f16_e32 v21, v22, v21
	v_fma_f16 v22, v46, s6, -v98
	v_fma_f16 v103, v51, s14, -v102
	v_add_f16_e32 v21, v22, v21
	v_fma_f16 v22, v47, s7, v99
	v_add_f16_e32 v100, v103, v100
	v_mul_f16_e32 v103, 0x3beb, v54
	v_add_f16_sdwa v14, v35, v23 dst_sel:DWORD dst_unused:UNUSED_PAD src0_sel:WORD_1 src1_sel:DWORD
	v_add_f16_e32 v22, v35, v22
	v_fma_f16 v23, v49, s9, v101
	v_fma_f16 v104, v53, s8, -v103
	v_add_f16_e32 v22, v23, v22
	v_fma_f16 v23, v51, s14, v102
	v_add_f16_e32 v100, v104, v100
	v_mul_f16_e32 v104, 0x3853, v67
	v_add_f16_e32 v22, v23, v22
	v_fma_f16 v23, v53, s8, v103
	v_mul_f16_e32 v36, 0xb853, v36
	v_add_f16_e32 v22, v23, v22
	v_fma_f16 v23, v55, s6, v104
	v_fma_f16 v105, v55, s6, -v104
	v_mul_f16_e32 v38, 0xbb47, v38
	v_add_f16_e32 v22, v23, v22
	v_fma_f16 v23, v37, s6, -v36
	v_add_f16_e32 v100, v105, v100
	v_fma_f16 v105, v37, s6, v36
	v_mul_f16_e32 v40, 0xbbeb, v40
	v_add_f16_e32 v14, v14, v24
	v_add_f16_sdwa v23, v35, v23 dst_sel:DWORD dst_unused:UNUSED_PAD src0_sel:WORD_1 src1_sel:DWORD
	v_fma_f16 v24, v39, s7, -v38
	v_add_f16_sdwa v105, v35, v105 dst_sel:DWORD dst_unused:UNUSED_PAD src0_sel:WORD_1 src1_sel:DWORD
	v_fma_f16 v106, v39, s7, v38
	v_mul_f16_e32 v42, 0xba0c, v42
	v_add_f16_e32 v23, v24, v23
	v_fma_f16 v24, v41, s8, -v40
	v_add_f16_e32 v105, v106, v105
	v_fma_f16 v106, v41, s8, v40
	v_mul_f16_e32 v44, 0xb482, v44
	v_add_f16_e32 v23, v24, v23
	v_fma_f16 v24, v43, s9, -v42
	v_add_f16_e32 v105, v106, v105
	v_fma_f16 v106, v43, s9, v42
	v_mul_f16_e32 v48, 0xb853, v48
	v_add_f16_e32 v14, v14, v25
	v_add_f16_e32 v23, v24, v23
	v_fma_f16 v24, v46, s14, -v44
	v_add_f16_e32 v105, v106, v105
	v_fma_f16 v106, v46, s14, v44
	v_mul_f16_e32 v50, 0xbb47, v50
	v_add_f16_e32 v14, v14, v26
	v_add_f16_e32 v23, v24, v23
	v_fma_f16 v24, v47, s6, v48
	v_lshrrev_b32_e32 v26, 1, v7
	v_add_f16_e32 v105, v106, v105
	v_fma_f16 v106, v47, s6, -v48
	v_mul_f16_e32 v52, 0xbbeb, v52
	v_add_f16_e32 v14, v14, v27
	v_add_f16_e32 v24, v35, v24
	v_fma_f16 v25, v49, s7, v50
	v_mul_lo_u32 v26, v26, 22
	v_add_f16_e32 v106, v35, v106
	v_fma_f16 v107, v49, s7, -v50
	v_mul_f16_e32 v54, 0xba0c, v54
	v_add_f16_e32 v14, v14, v28
	v_add_f16_e32 v24, v25, v24
	v_fma_f16 v25, v51, s8, v52
	v_add_f16_e32 v106, v107, v106
	v_fma_f16 v107, v51, s8, -v52
	v_mul_f16_e32 v67, 0xb482, v67
	v_add_f16_e32 v14, v14, v29
	v_add_f16_e32 v24, v25, v24
	v_fma_f16 v25, v53, s9, v54
	v_add_f16_e32 v106, v107, v106
	v_fma_f16 v107, v53, s9, -v54
	v_add_f16_e32 v14, v14, v30
	v_add_f16_e32 v24, v25, v24
	v_fma_f16 v25, v55, s14, v67
	v_add_f16_e32 v106, v107, v106
	v_fma_f16 v107, v55, s14, -v67
	v_add_f16_e32 v14, v14, v31
	v_add_f16_e32 v24, v25, v24
	v_or_b32_e32 v25, v26, v45
	v_add_f16_e32 v106, v107, v106
	v_add_f16_e32 v14, v14, v32
	v_lshlrev_b32_e32 v25, 2, v25
	v_add3_u32 v25, 0, v25, v10
	v_pack_b32_f16 v13, v13, v14
	v_pack_b32_f16 v14, v106, v105
	ds_write2_b32 v25, v13, v14 offset1:2
	v_pack_b32_f16 v13, v100, v94
	v_pack_b32_f16 v14, v88, v82
	ds_write2_b32 v25, v13, v14 offset0:4 offset1:6
	v_pack_b32_f16 v13, v76, v70
	v_pack_b32_f16 v14, v66, v65
	ds_write2_b32 v25, v13, v14 offset0:8 offset1:10
	;; [unrolled: 3-line block ×4, first 2 shown]
	v_pack_b32_f16 v13, v24, v23
	ds_write_b32 v25, v13 offset:80
.LBB0_16:
	s_or_b64 exec, exec, s[4:5]
	v_lshrrev_b16_e32 v13, 1, v3
	v_and_b32_e32 v13, 0x7f, v13
	v_mul_lo_u16_e32 v13, 0xbb, v13
	v_lshrrev_b16_e32 v32, 11, v13
	v_mul_lo_u16_e32 v13, 22, v32
	v_sub_u16_e32 v36, v3, v13
	v_mov_b32_e32 v15, 6
	v_mul_u32_u24_sdwa v13, v36, v15 dst_sel:DWORD dst_unused:UNUSED_PAD src0_sel:BYTE_0 src1_sel:DWORD
	v_lshlrev_b32_e32 v20, 2, v13
	s_waitcnt lgkmcnt(0)
	s_barrier
	global_load_dwordx4 v[16:19], v20, s[12:13] offset:80
	global_load_dwordx2 v[13:14], v20, s[12:13] offset:96
	v_lshrrev_b16_e32 v20, 1, v7
	v_and_b32_e32 v20, 0x7f, v20
	v_mul_lo_u16_e32 v20, 0xbb, v20
	v_lshrrev_b16_e32 v37, 11, v20
	v_mul_lo_u16_e32 v20, 22, v37
	v_sub_u16_e32 v38, v7, v20
	v_mul_u32_u24_sdwa v15, v38, v15 dst_sel:DWORD dst_unused:UNUSED_PAD src0_sel:BYTE_0 src1_sel:DWORD
	v_lshlrev_b32_e32 v15, 2, v15
	global_load_dwordx4 v[20:23], v15, s[12:13] offset:80
	global_load_dwordx2 v[24:25], v15, s[12:13] offset:96
	v_lshlrev_b32_e32 v26, 2, v12
	v_lshlrev_b32_e32 v27, 2, v11
	;; [unrolled: 1-line block ×3, first 2 shown]
	v_add_u32_e32 v40, 0x800, v8
	ds_read_b32 v39, v33
	v_add_u32_e32 v41, 0xa00, v8
	v_add_u32_e32 v42, 0xc00, v8
	v_add3_u32 v15, 0, v34, v10
	v_add_u32_e32 v43, 0x300, v8
	v_add3_u32 v44, 0, v26, v10
	v_add3_u32 v45, 0, v27, v10
	;; [unrolled: 1-line block ×3, first 2 shown]
	ds_read2_b32 v[26:27], v40 offset0:27 offset1:104
	ds_read2_b32 v[28:29], v41 offset0:53 offset1:130
	;; [unrolled: 1-line block ×4, first 2 shown]
	ds_read_b32 v47, v45
	ds_read_b32 v48, v46
	;; [unrolled: 1-line block ×4, first 2 shown]
	ds_read_b32 v51, v8 offset:4004
	s_waitcnt lgkmcnt(7)
	v_lshrrev_b32_e32 v52, 16, v29
	v_lshrrev_b32_e32 v56, 16, v26
	;; [unrolled: 1-line block ×3, first 2 shown]
	s_waitcnt lgkmcnt(6)
	v_lshrrev_b32_e32 v58, 16, v30
	v_lshrrev_b32_e32 v53, 16, v31
	s_waitcnt lgkmcnt(0)
	v_lshrrev_b32_e32 v60, 16, v51
	v_lshrrev_b32_e32 v61, 16, v50
	;; [unrolled: 1-line block ×7, first 2 shown]
	s_movk_i32 s5, 0x2b26
	s_movk_i32 s4, 0x3b00
	s_mov_b32 s6, 0xbcab
	s_movk_i32 s7, 0x39e0
	s_mov_b32 s9, 0xb9e0
	;; [unrolled: 2-line block ×3, first 2 shown]
	s_movk_i32 s8, 0x370e
	s_movk_i32 s0, 0x268
	s_waitcnt vmcnt(0)
	s_barrier
	v_mul_f16_sdwa v64, v16, v61 dst_sel:DWORD dst_unused:UNUSED_PAD src0_sel:WORD_1 src1_sel:DWORD
	v_mul_f16_sdwa v72, v52, v13 dst_sel:DWORD dst_unused:UNUSED_PAD src0_sel:DWORD src1_sel:WORD_1
	v_mul_f16_sdwa v73, v29, v13 dst_sel:DWORD dst_unused:UNUSED_PAD src0_sel:DWORD src1_sel:WORD_1
	v_fma_f16 v29, v29, v13, -v72
	v_fma_f16 v13, v52, v13, v73
	v_mul_f16_sdwa v65, v16, v50 dst_sel:DWORD dst_unused:UNUSED_PAD src0_sel:WORD_1 src1_sel:DWORD
	v_mul_f16_sdwa v66, v17, v62 dst_sel:DWORD dst_unused:UNUSED_PAD src0_sel:WORD_1 src1_sel:DWORD
	v_mul_f16_sdwa v67, v17, v47 dst_sel:DWORD dst_unused:UNUSED_PAD src0_sel:WORD_1 src1_sel:DWORD
	v_mul_f16_sdwa v74, v53, v14 dst_sel:DWORD dst_unused:UNUSED_PAD src0_sel:DWORD src1_sel:WORD_1
	v_mul_f16_sdwa v80, v56, v22 dst_sel:DWORD dst_unused:UNUSED_PAD src0_sel:DWORD src1_sel:WORD_1
	v_fma_f16 v52, v26, v22, -v80
	v_mul_f16_sdwa v26, v26, v22 dst_sel:DWORD dst_unused:UNUSED_PAD src0_sel:DWORD src1_sel:WORD_1
	v_fma_f16 v22, v56, v22, v26
	v_mul_f16_sdwa v26, v57, v23 dst_sel:DWORD dst_unused:UNUSED_PAD src0_sel:DWORD src1_sel:WORD_1
	v_fma_f16 v26, v28, v23, -v26
	v_mul_f16_sdwa v28, v28, v23 dst_sel:DWORD dst_unused:UNUSED_PAD src0_sel:DWORD src1_sel:WORD_1
	v_fma_f16 v23, v57, v23, v28
	v_mul_f16_sdwa v28, v58, v24 dst_sel:DWORD dst_unused:UNUSED_PAD src0_sel:DWORD src1_sel:WORD_1
	v_fma_f16 v28, v30, v24, -v28
	v_mul_f16_sdwa v30, v30, v24 dst_sel:DWORD dst_unused:UNUSED_PAD src0_sel:DWORD src1_sel:WORD_1
	v_mul_f16_sdwa v75, v31, v14 dst_sel:DWORD dst_unused:UNUSED_PAD src0_sel:DWORD src1_sel:WORD_1
	v_fma_f16 v24, v58, v24, v30
	v_mul_f16_sdwa v30, v60, v25 dst_sel:DWORD dst_unused:UNUSED_PAD src0_sel:DWORD src1_sel:WORD_1
	v_mul_f16_sdwa v68, v18, v63 dst_sel:DWORD dst_unused:UNUSED_PAD src0_sel:WORD_1 src1_sel:DWORD
	v_mul_f16_sdwa v69, v18, v48 dst_sel:DWORD dst_unused:UNUSED_PAD src0_sel:WORD_1 src1_sel:DWORD
	;; [unrolled: 1-line block ×4, first 2 shown]
	v_fma_f16 v50, v16, v50, -v64
	v_fma_f16 v16, v16, v61, v65
	v_fma_f16 v47, v17, v47, -v66
	v_fma_f16 v17, v17, v62, v67
	;; [unrolled: 2-line block ×3, first 2 shown]
	v_fma_f16 v30, v51, v25, -v30
	v_mul_f16_sdwa v51, v51, v25 dst_sel:DWORD dst_unused:UNUSED_PAD src0_sel:DWORD src1_sel:WORD_1
	v_fma_f16 v48, v18, v48, -v68
	v_fma_f16 v18, v18, v63, v69
	v_fma_f16 v27, v19, v27, -v70
	v_fma_f16 v19, v19, v59, v71
	v_fma_f16 v25, v60, v25, v51
	v_add_f16_e32 v51, v50, v31
	v_add_f16_e32 v53, v16, v14
	v_sub_f16_e32 v31, v50, v31
	v_sub_f16_e32 v14, v16, v14
	v_add_f16_e32 v16, v47, v29
	v_add_f16_e32 v50, v17, v13
	v_mul_f16_sdwa v76, v54, v20 dst_sel:DWORD dst_unused:UNUSED_PAD src0_sel:DWORD src1_sel:WORD_1
	v_mul_f16_sdwa v77, v34, v20 dst_sel:DWORD dst_unused:UNUSED_PAD src0_sel:DWORD src1_sel:WORD_1
	v_sub_f16_e32 v29, v47, v29
	v_sub_f16_e32 v13, v17, v13
	v_add_f16_e32 v17, v48, v27
	v_add_f16_e32 v47, v18, v19
	v_sub_f16_e32 v27, v27, v48
	v_sub_f16_e32 v18, v19, v18
	v_add_f16_e32 v19, v16, v51
	v_add_f16_e32 v48, v50, v53
	v_mul_f16_sdwa v78, v55, v21 dst_sel:DWORD dst_unused:UNUSED_PAD src0_sel:DWORD src1_sel:WORD_1
	v_mul_f16_sdwa v79, v35, v21 dst_sel:DWORD dst_unused:UNUSED_PAD src0_sel:DWORD src1_sel:WORD_1
	v_fma_f16 v34, v34, v20, -v76
	v_fma_f16 v20, v54, v20, v77
	v_sub_f16_e32 v54, v16, v51
	v_sub_f16_e32 v51, v51, v17
	v_sub_f16_e32 v16, v17, v16
	v_add_f16_e32 v17, v17, v19
	v_add_f16_e32 v19, v47, v48
	v_fma_f16 v35, v35, v21, -v78
	v_fma_f16 v21, v55, v21, v79
	v_sub_f16_e32 v55, v50, v53
	v_sub_f16_e32 v53, v53, v47
	;; [unrolled: 1-line block ×3, first 2 shown]
	v_add_f16_e32 v56, v27, v29
	v_add_f16_e32 v57, v18, v13
	v_sub_f16_e32 v58, v27, v29
	v_sub_f16_e32 v59, v18, v13
	;; [unrolled: 1-line block ×4, first 2 shown]
	v_add_f16_e32 v47, v17, v39
	v_add_f16_sdwa v39, v19, v39 dst_sel:DWORD dst_unused:UNUSED_PAD src0_sel:DWORD src1_sel:WORD_1
	v_sub_f16_e32 v27, v31, v27
	v_sub_f16_e32 v18, v14, v18
	v_add_f16_e32 v31, v56, v31
	v_add_f16_e32 v14, v57, v14
	v_lshlrev_b32_e32 v48, 16, v39
	v_mul_f16_e32 v51, 0x3a52, v51
	v_mul_f16_e32 v53, 0x3a52, v53
	;; [unrolled: 1-line block ×8, first 2 shown]
	v_or_b32_e32 v48, v48, v47
	v_fma_f16 v17, v17, s6, v47
	v_fma_f16 v19, v19, s6, v39
	;; [unrolled: 1-line block ×4, first 2 shown]
	v_fma_f16 v47, v54, s7, -v56
	v_fma_f16 v50, v55, s7, -v57
	;; [unrolled: 1-line block ×4, first 2 shown]
	v_fma_f16 v54, v27, s14, v58
	v_fma_f16 v55, v18, s14, v59
	v_fma_f16 v13, v13, s4, -v59
	v_fma_f16 v27, v27, s15, -v60
	;; [unrolled: 1-line block ×4, first 2 shown]
	v_add_f16_e32 v16, v16, v17
	v_add_f16_e32 v39, v39, v19
	;; [unrolled: 1-line block ×6, first 2 shown]
	v_fma_f16 v51, v31, s8, v54
	v_fma_f16 v53, v14, s8, v55
	;; [unrolled: 1-line block ×6, first 2 shown]
	v_sub_f16_e32 v31, v39, v51
	v_add_f16_e32 v54, v14, v17
	v_sub_f16_e32 v55, v19, v27
	v_sub_f16_e32 v14, v17, v14
	v_add_f16_e32 v17, v27, v19
	v_add_f16_e32 v19, v51, v39
	;; [unrolled: 1-line block ×4, first 2 shown]
	v_sub_f16_e32 v30, v34, v30
	v_sub_f16_e32 v20, v20, v25
	v_add_f16_e32 v25, v35, v28
	v_add_f16_e32 v34, v21, v24
	v_sub_f16_e32 v56, v47, v13
	v_add_f16_e32 v13, v13, v47
	v_sub_f16_e32 v28, v35, v28
	v_sub_f16_e32 v21, v21, v24
	v_add_f16_e32 v24, v52, v26
	v_add_f16_e32 v35, v22, v23
	v_sub_f16_e32 v26, v26, v52
	v_sub_f16_e32 v22, v23, v22
	v_add_f16_e32 v23, v25, v27
	v_add_f16_e32 v47, v34, v39
	;; [unrolled: 1-line block ×4, first 2 shown]
	v_sub_f16_e32 v29, v50, v29
	v_sub_f16_e32 v16, v16, v53
	;; [unrolled: 1-line block ×8, first 2 shown]
	v_add_f16_e32 v52, v26, v28
	v_add_f16_e32 v53, v22, v21
	v_sub_f16_e32 v58, v26, v28
	v_sub_f16_e32 v59, v22, v21
	;; [unrolled: 1-line block ×4, first 2 shown]
	v_add_f16_e32 v23, v24, v23
	v_add_f16_e32 v24, v35, v47
	v_sub_f16_e32 v26, v30, v26
	v_sub_f16_e32 v22, v20, v22
	v_add_f16_e32 v30, v52, v30
	v_add_f16_e32 v20, v53, v20
	;; [unrolled: 1-line block ×3, first 2 shown]
	v_add_f16_sdwa v47, v24, v49 dst_sel:DWORD dst_unused:UNUSED_PAD src0_sel:DWORD src1_sel:WORD_1
	v_mul_f16_e32 v27, 0x3a52, v27
	v_mul_f16_e32 v39, 0x3a52, v39
	;; [unrolled: 1-line block ×8, first 2 shown]
	v_fma_f16 v23, v23, s6, v35
	v_fma_f16 v24, v24, s6, v47
	;; [unrolled: 1-line block ×4, first 2 shown]
	v_fma_f16 v49, v50, s7, -v49
	v_fma_f16 v52, v51, s7, -v52
	;; [unrolled: 1-line block ×4, first 2 shown]
	v_fma_f16 v50, v26, s14, v53
	v_fma_f16 v51, v22, s14, v58
	v_fma_f16 v21, v21, s4, -v58
	v_fma_f16 v26, v26, s15, -v59
	;; [unrolled: 1-line block ×4, first 2 shown]
	v_add_f16_e32 v25, v25, v23
	v_add_f16_e32 v34, v34, v24
	;; [unrolled: 1-line block ×6, first 2 shown]
	v_fma_f16 v27, v30, s8, v50
	v_fma_f16 v39, v20, s8, v51
	;; [unrolled: 1-line block ×6, first 2 shown]
	v_add_f16_e32 v22, v39, v25
	v_sub_f16_e32 v30, v34, v27
	v_add_f16_e32 v50, v20, v23
	v_sub_f16_e32 v51, v24, v26
	v_sub_f16_e32 v20, v23, v20
	v_add_f16_e32 v23, v26, v24
	v_sub_f16_e32 v24, v25, v39
	v_add_f16_e32 v25, v27, v34
	v_mov_b32_e32 v27, 2
	v_mad_u32_u24 v26, v32, s0, 0
	v_lshlrev_b32_sdwa v32, v27, v36 dst_sel:DWORD dst_unused:UNUSED_PAD src0_sel:DWORD src1_sel:BYTE_0
	v_add3_u32 v26, v26, v32, v10
	v_pack_b32_f16 v13, v13, v29
	v_pack_b32_f16 v14, v14, v17
	ds_write2_b32 v26, v13, v14 offset0:88 offset1:110
	v_pack_b32_f16 v13, v16, v19
	v_pack_b32_f16 v18, v18, v31
	ds_write_b32 v26, v13 offset:528
	v_mad_u32_u24 v13, v37, s0, 0
	v_lshlrev_b32_sdwa v14, v27, v38 dst_sel:DWORD dst_unused:UNUSED_PAD src0_sel:DWORD src1_sel:BYTE_0
	v_sub_f16_e32 v53, v49, v21
	v_add_f16_e32 v58, v28, v52
	ds_write2_b32 v26, v48, v18 offset1:22
	v_pack_b32_f16 v18, v54, v55
	v_pack_b32_f16 v31, v56, v57
	v_add3_u32 v10, v13, v14, v10
	v_pack_b32_f16 v13, v35, v47
	v_pack_b32_f16 v14, v22, v30
	v_add_f16_e32 v21, v21, v49
	v_sub_f16_e32 v28, v52, v28
	ds_write2_b32 v26, v18, v31 offset0:44 offset1:66
	ds_write2_b32 v10, v13, v14 offset1:22
	v_pack_b32_f16 v13, v50, v51
	v_pack_b32_f16 v14, v53, v58
	ds_write2_b32 v10, v13, v14 offset0:44 offset1:66
	v_pack_b32_f16 v13, v21, v28
	v_pack_b32_f16 v14, v20, v23
	ds_write2_b32 v10, v13, v14 offset0:88 offset1:110
	v_pack_b32_f16 v13, v24, v25
	ds_write_b32 v10, v13 offset:528
	v_mul_u32_u24_e32 v10, 6, v3
	v_lshlrev_b32_e32 v10, 2, v10
	s_waitcnt lgkmcnt(0)
	s_barrier
	global_load_dwordx4 v[16:19], v10, s[12:13] offset:608
	global_load_dwordx2 v[24:25], v10, s[12:13] offset:624
	v_mul_i32_i24_e32 v13, 6, v7
	v_mov_b32_e32 v14, 0
	v_lshlrev_b64 v[20:21], 2, v[13:14]
	v_mov_b32_e32 v10, s13
	v_add_co_u32_e64 v26, s[0:1], s12, v20
	v_addc_co_u32_e64 v27, s[0:1], v10, v21, s[0:1]
	global_load_dwordx4 v[20:23], v[26:27], off offset:608
	global_load_dwordx2 v[28:29], v[26:27], off offset:624
	ds_read2_b32 v[26:27], v42 offset0:79 offset1:156
	ds_read_b32 v10, v33
	ds_read2_b32 v[30:31], v40 offset0:27 offset1:104
	ds_read2_b32 v[34:35], v41 offset0:53 offset1:130
	ds_read2_b32 v[36:37], v43 offset0:39 offset1:193
	ds_read_b32 v32, v45
	ds_read_b32 v38, v46
	;; [unrolled: 1-line block ×4, first 2 shown]
	ds_read_b32 v42, v8 offset:4004
	s_waitcnt lgkmcnt(9)
	v_lshrrev_b32_e32 v13, 16, v27
	s_waitcnt lgkmcnt(7)
	v_lshrrev_b32_e32 v44, 16, v30
	;; [unrolled: 2-line block ×4, first 2 shown]
	v_lshrrev_b32_e32 v43, 16, v37
	v_lshrrev_b32_e32 v45, 16, v34
	;; [unrolled: 1-line block ×3, first 2 shown]
	s_waitcnt lgkmcnt(0)
	v_lshrrev_b32_e32 v47, 16, v42
	s_waitcnt vmcnt(0)
	s_barrier
	v_cmp_ne_u32_e64 s[0:1], 0, v3
	v_mul_f16_sdwa v49, v16, v48 dst_sel:DWORD dst_unused:UNUSED_PAD src0_sel:WORD_1 src1_sel:DWORD
	v_fma_f16 v49, v16, v41, -v49
	v_mul_f16_sdwa v41, v16, v41 dst_sel:DWORD dst_unused:UNUSED_PAD src0_sel:WORD_1 src1_sel:DWORD
	v_fma_f16 v16, v16, v48, v41
	v_lshrrev_b32_e32 v41, 16, v32
	v_mul_f16_sdwa v48, v17, v41 dst_sel:DWORD dst_unused:UNUSED_PAD src0_sel:WORD_1 src1_sel:DWORD
	v_fma_f16 v48, v17, v32, -v48
	v_mul_f16_sdwa v32, v17, v32 dst_sel:DWORD dst_unused:UNUSED_PAD src0_sel:WORD_1 src1_sel:DWORD
	v_fma_f16 v17, v17, v41, v32
	v_lshrrev_b32_e32 v32, 16, v38
	;; [unrolled: 5-line block ×4, first 2 shown]
	v_mul_f16_sdwa v32, v24, v31 dst_sel:DWORD dst_unused:UNUSED_PAD src0_sel:WORD_1 src1_sel:DWORD
	v_fma_f16 v32, v24, v35, -v32
	v_mul_f16_sdwa v35, v24, v35 dst_sel:DWORD dst_unused:UNUSED_PAD src0_sel:WORD_1 src1_sel:DWORD
	v_fma_f16 v24, v24, v31, v35
	v_mul_f16_sdwa v31, v13, v25 dst_sel:DWORD dst_unused:UNUSED_PAD src0_sel:DWORD src1_sel:WORD_1
	v_fma_f16 v31, v27, v25, -v31
	v_mul_f16_sdwa v27, v27, v25 dst_sel:DWORD dst_unused:UNUSED_PAD src0_sel:DWORD src1_sel:WORD_1
	v_fma_f16 v13, v13, v25, v27
	v_mul_f16_sdwa v25, v40, v20 dst_sel:DWORD dst_unused:UNUSED_PAD src0_sel:DWORD src1_sel:WORD_1
	v_mul_f16_sdwa v27, v36, v20 dst_sel:DWORD dst_unused:UNUSED_PAD src0_sel:DWORD src1_sel:WORD_1
	v_fma_f16 v25, v36, v20, -v25
	v_fma_f16 v20, v40, v20, v27
	v_mul_f16_sdwa v27, v43, v21 dst_sel:DWORD dst_unused:UNUSED_PAD src0_sel:DWORD src1_sel:WORD_1
	v_mul_f16_sdwa v35, v37, v21 dst_sel:DWORD dst_unused:UNUSED_PAD src0_sel:DWORD src1_sel:WORD_1
	v_fma_f16 v27, v37, v21, -v27
	v_fma_f16 v21, v43, v21, v35
	v_mul_f16_sdwa v35, v44, v22 dst_sel:DWORD dst_unused:UNUSED_PAD src0_sel:DWORD src1_sel:WORD_1
	v_fma_f16 v35, v30, v22, -v35
	v_mul_f16_sdwa v30, v30, v22 dst_sel:DWORD dst_unused:UNUSED_PAD src0_sel:DWORD src1_sel:WORD_1
	v_fma_f16 v22, v44, v22, v30
	v_mul_f16_sdwa v30, v45, v23 dst_sel:DWORD dst_unused:UNUSED_PAD src0_sel:DWORD src1_sel:WORD_1
	v_fma_f16 v30, v34, v23, -v30
	v_mul_f16_sdwa v34, v34, v23 dst_sel:DWORD dst_unused:UNUSED_PAD src0_sel:DWORD src1_sel:WORD_1
	;; [unrolled: 4-line block ×3, first 2 shown]
	v_fma_f16 v26, v46, v28, v26
	v_mul_f16_sdwa v28, v47, v29 dst_sel:DWORD dst_unused:UNUSED_PAD src0_sel:DWORD src1_sel:WORD_1
	v_mul_f16_sdwa v36, v42, v29 dst_sel:DWORD dst_unused:UNUSED_PAD src0_sel:DWORD src1_sel:WORD_1
	v_fma_f16 v28, v42, v29, -v28
	v_fma_f16 v29, v47, v29, v36
	v_add_f16_e32 v36, v49, v31
	v_add_f16_e32 v37, v16, v13
	v_sub_f16_e32 v13, v16, v13
	v_add_f16_e32 v16, v48, v32
	v_add_f16_e32 v40, v17, v24
	v_sub_f16_e32 v17, v17, v24
	;; [unrolled: 3-line block ×3, first 2 shown]
	v_sub_f16_e32 v18, v19, v18
	v_add_f16_e32 v19, v16, v36
	v_add_f16_e32 v41, v40, v37
	v_sub_f16_e32 v31, v49, v31
	v_sub_f16_e32 v32, v48, v32
	;; [unrolled: 1-line block ×5, first 2 shown]
	v_add_f16_e32 v19, v24, v19
	v_add_f16_e32 v24, v42, v41
	v_sub_f16_e32 v44, v40, v37
	v_sub_f16_e32 v37, v37, v42
	;; [unrolled: 1-line block ×3, first 2 shown]
	v_add_f16_e32 v45, v38, v32
	v_add_f16_e32 v46, v18, v17
	v_sub_f16_e32 v47, v38, v32
	v_sub_f16_e32 v48, v18, v17
	;; [unrolled: 1-line block ×4, first 2 shown]
	v_add_f16_e32 v41, v19, v10
	v_add_f16_sdwa v10, v24, v10 dst_sel:DWORD dst_unused:UNUSED_PAD src0_sel:DWORD src1_sel:WORD_1
	v_sub_f16_e32 v38, v31, v38
	v_sub_f16_e32 v18, v13, v18
	v_add_f16_e32 v31, v45, v31
	v_add_f16_e32 v13, v46, v13
	v_lshlrev_b32_e32 v42, 16, v10
	v_mul_f16_e32 v36, 0x3a52, v36
	v_mul_f16_e32 v37, 0x3a52, v37
	;; [unrolled: 1-line block ×8, first 2 shown]
	v_or_b32_e32 v42, v42, v41
	v_fma_f16 v19, v19, s6, v41
	v_fma_f16 v10, v24, s6, v10
	;; [unrolled: 1-line block ×4, first 2 shown]
	v_fma_f16 v40, v43, s7, -v45
	v_fma_f16 v41, v44, s7, -v46
	;; [unrolled: 1-line block ×4, first 2 shown]
	v_fma_f16 v43, v38, s14, v47
	v_fma_f16 v44, v18, s14, v48
	v_fma_f16 v32, v32, s4, -v47
	v_fma_f16 v17, v17, s4, -v48
	;; [unrolled: 1-line block ×4, first 2 shown]
	v_add_f16_e32 v16, v16, v19
	v_add_f16_e32 v24, v24, v10
	;; [unrolled: 1-line block ×6, first 2 shown]
	v_fma_f16 v36, v31, s8, v43
	v_fma_f16 v37, v13, s8, v44
	;; [unrolled: 1-line block ×6, first 2 shown]
	v_sub_f16_e32 v38, v24, v36
	v_add_f16_e32 v43, v13, v19
	v_sub_f16_e32 v44, v10, v31
	v_sub_f16_e32 v13, v19, v13
	v_add_f16_e32 v10, v31, v10
	v_add_f16_e32 v19, v36, v24
	;; [unrolled: 1-line block ×4, first 2 shown]
	v_sub_f16_e32 v25, v25, v28
	v_sub_f16_e32 v20, v20, v29
	v_add_f16_e32 v28, v27, v34
	v_add_f16_e32 v29, v21, v26
	v_sub_f16_e32 v27, v27, v34
	v_sub_f16_e32 v21, v21, v26
	v_add_f16_e32 v26, v35, v30
	v_add_f16_e32 v34, v22, v23
	;; [unrolled: 4-line block ×3, first 2 shown]
	v_add_f16_e32 v18, v37, v16
	v_sub_f16_e32 v45, v40, v17
	v_add_f16_e32 v46, v32, v41
	v_add_f16_e32 v17, v17, v40
	v_sub_f16_e32 v32, v41, v32
	v_sub_f16_e32 v16, v16, v37
	;; [unrolled: 1-line block ×8, first 2 shown]
	v_add_f16_e32 v40, v30, v27
	v_add_f16_e32 v41, v22, v21
	v_sub_f16_e32 v47, v30, v27
	v_sub_f16_e32 v48, v22, v21
	v_add_f16_e32 v23, v26, v23
	v_add_f16_e32 v26, v34, v35
	v_sub_f16_e32 v30, v25, v30
	v_sub_f16_e32 v22, v20, v22
	;; [unrolled: 1-line block ×4, first 2 shown]
	v_add_f16_e32 v25, v40, v25
	v_add_f16_e32 v20, v41, v20
	;; [unrolled: 1-line block ×3, first 2 shown]
	v_add_f16_sdwa v35, v26, v39 dst_sel:DWORD dst_unused:UNUSED_PAD src0_sel:DWORD src1_sel:WORD_1
	v_mul_f16_e32 v24, 0x3a52, v24
	v_mul_f16_e32 v31, 0x3a52, v31
	;; [unrolled: 1-line block ×8, first 2 shown]
	v_fma_f16 v23, v23, s6, v34
	v_fma_f16 v26, v26, s6, v35
	;; [unrolled: 1-line block ×4, first 2 shown]
	v_fma_f16 v39, v36, s7, -v39
	v_fma_f16 v40, v37, s7, -v40
	;; [unrolled: 1-line block ×4, first 2 shown]
	v_fma_f16 v36, v30, s14, v41
	v_fma_f16 v37, v22, s14, v47
	v_fma_f16 v27, v27, s4, -v41
	v_fma_f16 v21, v21, s4, -v47
	;; [unrolled: 1-line block ×4, first 2 shown]
	v_add_f16_e32 v28, v28, v23
	v_add_f16_e32 v29, v29, v26
	;; [unrolled: 1-line block ×6, first 2 shown]
	v_fma_f16 v26, v25, s8, v36
	v_fma_f16 v31, v20, s8, v37
	v_pack_b32_f16 v17, v17, v32
	v_pack_b32_f16 v10, v13, v10
	v_add_u32_e32 v13, 0x900, v8
	v_fma_f16 v27, v25, s8, v27
	v_fma_f16 v21, v20, s8, v21
	;; [unrolled: 1-line block ×4, first 2 shown]
	v_add_f16_e32 v22, v31, v28
	v_sub_f16_e32 v30, v29, v26
	v_pack_b32_f16 v18, v18, v38
	ds_write2_b32 v13, v17, v10 offset0:40 offset1:194
	v_pack_b32_f16 v10, v16, v19
	v_add_f16_e32 v36, v20, v23
	v_sub_f16_e32 v37, v24, v25
	v_sub_f16_e32 v41, v39, v21
	v_add_f16_e32 v47, v27, v40
	v_sub_f16_e32 v20, v23, v20
	v_add_f16_e32 v23, v25, v24
	;; [unrolled: 2-line block ×3, first 2 shown]
	ds_write2_b32 v8, v42, v18 offset1:154
	v_pack_b32_f16 v18, v43, v44
	v_pack_b32_f16 v26, v45, v46
	v_add_u32_e32 v28, 0x400, v8
	ds_write_b32 v8, v10 offset:3696
	v_pack_b32_f16 v8, v34, v35
	v_pack_b32_f16 v10, v22, v30
	v_add_f16_e32 v21, v21, v39
	v_sub_f16_e32 v27, v40, v27
	ds_write2_b32 v28, v18, v26 offset0:52 offset1:206
	ds_write2_b32 v15, v8, v10 offset1:154
	v_pack_b32_f16 v8, v36, v37
	v_pack_b32_f16 v10, v41, v47
	v_add_u32_e32 v13, 0x400, v15
	ds_write2_b32 v13, v8, v10 offset0:52 offset1:206
	v_pack_b32_f16 v8, v21, v27
	v_pack_b32_f16 v10, v20, v23
	v_add_u32_e32 v13, 0x900, v15
	ds_write2_b32 v13, v8, v10 offset0:40 offset1:194
	v_pack_b32_f16 v8, v24, v25
	ds_write_b32 v15, v8 offset:3696
	s_waitcnt lgkmcnt(0)
	s_barrier
	ds_read_b32 v8, v33
	s_add_u32 s6, s12, 0x10d0
	s_addc_u32 s7, s13, 0
	v_sub_u32_e32 v17, v0, v4
                                        ; implicit-def: $vgpr18
                                        ; implicit-def: $vgpr10
                                        ; implicit-def: $vgpr15_vgpr16
	s_and_saveexec_b64 s[4:5], s[0:1]
	s_xor_b64 s[4:5], exec, s[4:5]
	s_cbranch_execz .LBB0_18
; %bb.17:
	v_mov_b32_e32 v4, v14
	v_lshlrev_b64 v[13:14], 2, v[3:4]
	v_mov_b32_e32 v10, s7
	v_add_co_u32_e64 v13, s[0:1], s6, v13
	v_addc_co_u32_e64 v14, s[0:1], v10, v14, s[0:1]
	global_load_dword v13, v[13:14], off
	ds_read_b32 v10, v17 offset:4312
	s_waitcnt lgkmcnt(0)
	v_sub_f16_e32 v16, v8, v10
	v_add_f16_e32 v14, v10, v8
	v_add_f16_sdwa v15, v10, v8 dst_sel:DWORD dst_unused:UNUSED_PAD src0_sel:WORD_1 src1_sel:WORD_1
	v_sub_f16_sdwa v8, v8, v10 dst_sel:DWORD dst_unused:UNUSED_PAD src0_sel:WORD_1 src1_sel:WORD_1
	v_mul_f16_e32 v10, 0.5, v16
	v_mul_f16_e32 v15, 0.5, v15
	;; [unrolled: 1-line block ×3, first 2 shown]
	s_waitcnt vmcnt(0)
	v_lshrrev_b32_e32 v16, 16, v13
	v_mul_f16_e32 v18, v16, v10
	v_fma_f16 v19, v15, v16, v8
	v_fma_f16 v8, v15, v16, -v8
	v_fma_f16 v16, v14, 0.5, v18
	v_fma_f16 v14, v14, 0.5, -v18
	v_fma_f16 v19, -v13, v10, v19
	v_fma_f16 v8, -v13, v10, v8
	v_fma_f16 v10, v13, v15, v16
	v_fma_f16 v18, -v13, v15, v14
	v_mov_b32_e32 v16, v4
	ds_write_b16 v33, v19 offset:2
	ds_write_b16 v17, v8 offset:4314
	v_mov_b32_e32 v15, v3
                                        ; implicit-def: $vgpr8
.LBB0_18:
	s_andn2_saveexec_b64 s[0:1], s[4:5]
	s_cbranch_execz .LBB0_20
; %bb.19:
	v_mov_b32_e32 v4, 0
	ds_write_b16 v33, v4 offset:2
	ds_write_b16 v17, v4 offset:4314
	ds_read_u16 v4, v0 offset:2158
	v_mov_b32_e32 v15, 0
	s_waitcnt lgkmcnt(3)
	v_add_f16_sdwa v10, v8, v8 dst_sel:DWORD dst_unused:UNUSED_PAD src0_sel:WORD_1 src1_sel:DWORD
	v_sub_f16_sdwa v18, v8, v8 dst_sel:DWORD dst_unused:UNUSED_PAD src0_sel:DWORD src1_sel:WORD_1
	v_mov_b32_e32 v16, 0
	s_waitcnt lgkmcnt(0)
	v_xor_b32_e32 v4, 0x8000, v4
	ds_write_b16 v0, v4 offset:2158
.LBB0_20:
	s_or_b64 exec, exec, s[0:1]
	s_waitcnt lgkmcnt(0)
	v_mov_b32_e32 v8, 0
	v_lshlrev_b64 v[13:14], 2, v[7:8]
	v_mov_b32_e32 v4, s7
	v_add_co_u32_e64 v13, s[0:1], s6, v13
	v_addc_co_u32_e64 v14, s[0:1], v4, v14, s[0:1]
	global_load_dword v4, v[13:14], off
	v_mov_b32_e32 v13, v8
	v_lshlrev_b64 v[13:14], 2, v[12:13]
	v_mov_b32_e32 v19, s7
	v_add_co_u32_e64 v13, s[0:1], s6, v13
	v_addc_co_u32_e64 v14, s[0:1], v19, v14, s[0:1]
	global_load_dword v20, v[13:14], off
	v_lshlrev_b64 v[13:14], 2, v[15:16]
	v_mov_b32_e32 v15, s7
	v_add_co_u32_e64 v13, s[0:1], s6, v13
	v_addc_co_u32_e64 v14, s[0:1], v15, v14, s[0:1]
	global_load_dword v21, v[13:14], off offset:924
	v_lshl_add_u32 v22, v12, 2, v0
	v_mov_b32_e32 v12, v8
	v_lshlrev_b64 v[15:16], 2, v[11:12]
	ds_write_b16 v33, v10
	ds_write_b16 v17, v18 offset:4312
	v_mov_b32_e32 v10, v8
	v_mov_b32_e32 v23, s7
	v_lshlrev_b64 v[18:19], 2, v[9:10]
	v_add_co_u32_e64 v15, s[0:1], s6, v15
	v_addc_co_u32_e64 v16, s[0:1], v23, v16, s[0:1]
	v_mov_b32_e32 v24, s7
	v_add_co_u32_e64 v18, s[0:1], s6, v18
	v_lshl_add_u32 v7, v7, 2, v0
	v_addc_co_u32_e64 v19, s[0:1], v24, v19, s[0:1]
	ds_read_b32 v25, v7
	ds_read_b32 v26, v17 offset:4004
	global_load_dword v10, v[18:19], off
	global_load_dword v12, v[15:16], off
	global_load_dword v23, v[13:14], off offset:1540
	s_mov_b32 s4, 0xffff
	v_lshl_add_u32 v11, v11, 2, v0
	s_waitcnt lgkmcnt(0)
	v_pk_add_f16 v13, v25, v26 neg_lo:[0,1] neg_hi:[0,1]
	v_pk_add_f16 v14, v25, v26
	v_bfi_b32 v15, s4, v13, v14
	v_bfi_b32 v13, s4, v14, v13
	v_pk_mul_f16 v14, v15, 0.5 op_sel_hi:[1,0]
	v_pk_mul_f16 v13, v13, 0.5 op_sel_hi:[1,0]
	s_waitcnt vmcnt(5)
	v_pk_fma_f16 v15, v4, v14, v13 op_sel:[1,0,0]
	v_pk_mul_f16 v16, v4, v14 op_sel_hi:[0,1]
	v_pk_fma_f16 v18, v4, v14, v13 op_sel:[1,0,0] neg_lo:[1,0,0] neg_hi:[1,0,0]
	v_pk_fma_f16 v4, v4, v14, v13 op_sel:[1,0,0] neg_lo:[0,0,1] neg_hi:[0,0,1]
	v_pk_add_f16 v13, v15, v16 op_sel:[0,1] op_sel_hi:[1,0]
	v_pk_add_f16 v14, v15, v16 op_sel:[0,1] op_sel_hi:[1,0] neg_lo:[0,1] neg_hi:[0,1]
	v_pk_add_f16 v15, v18, v16 op_sel:[0,1] op_sel_hi:[1,0] neg_lo:[0,1] neg_hi:[0,1]
	;; [unrolled: 1-line block ×3, first 2 shown]
	v_bfi_b32 v13, s4, v13, v14
	v_bfi_b32 v4, s4, v15, v4
	ds_write_b32 v7, v13
	ds_write_b32 v17, v4 offset:4004
	ds_read_b32 v4, v22
	ds_read_b32 v7, v17 offset:3696
	s_waitcnt lgkmcnt(0)
	v_pk_add_f16 v13, v4, v7 neg_lo:[0,1] neg_hi:[0,1]
	v_pk_add_f16 v4, v4, v7
	v_bfi_b32 v7, s4, v13, v4
	v_bfi_b32 v4, s4, v4, v13
	v_pk_mul_f16 v7, v7, 0.5 op_sel_hi:[1,0]
	v_pk_mul_f16 v4, v4, 0.5 op_sel_hi:[1,0]
	s_waitcnt vmcnt(4)
	v_pk_fma_f16 v13, v20, v7, v4 op_sel:[1,0,0]
	v_pk_mul_f16 v14, v20, v7 op_sel_hi:[0,1]
	v_pk_fma_f16 v15, v20, v7, v4 op_sel:[1,0,0] neg_lo:[1,0,0] neg_hi:[1,0,0]
	v_pk_fma_f16 v4, v20, v7, v4 op_sel:[1,0,0] neg_lo:[0,0,1] neg_hi:[0,0,1]
	v_pk_add_f16 v7, v13, v14 op_sel:[0,1] op_sel_hi:[1,0]
	v_pk_add_f16 v13, v13, v14 op_sel:[0,1] op_sel_hi:[1,0] neg_lo:[0,1] neg_hi:[0,1]
	v_pk_add_f16 v15, v15, v14 op_sel:[0,1] op_sel_hi:[1,0] neg_lo:[0,1] neg_hi:[0,1]
	;; [unrolled: 1-line block ×3, first 2 shown]
	v_bfi_b32 v7, s4, v7, v13
	v_bfi_b32 v4, s4, v15, v4
	ds_write_b32 v22, v7
	ds_write_b32 v17, v4 offset:3696
	ds_read_b32 v4, v33 offset:924
	ds_read_b32 v7, v17 offset:3388
	s_waitcnt lgkmcnt(0)
	v_pk_add_f16 v13, v4, v7 neg_lo:[0,1] neg_hi:[0,1]
	v_pk_add_f16 v4, v4, v7
	v_bfi_b32 v7, s4, v13, v4
	v_bfi_b32 v4, s4, v4, v13
	v_pk_mul_f16 v7, v7, 0.5 op_sel_hi:[1,0]
	v_pk_mul_f16 v13, v4, 0.5 op_sel_hi:[1,0]
	s_waitcnt vmcnt(3)
	v_pk_mul_f16 v14, v21, v7 op_sel:[1,0]
	v_pk_mul_f16 v7, v21, v7 op_sel_hi:[0,1]
	v_pk_fma_f16 v4, v4, 0.5, v14 op_sel_hi:[1,0,1]
	v_sub_f16_e32 v15, v13, v14
	v_sub_f16_sdwa v13, v14, v13 dst_sel:DWORD dst_unused:UNUSED_PAD src0_sel:WORD_1 src1_sel:WORD_1
	v_pk_add_f16 v14, v4, v7 op_sel:[0,1] op_sel_hi:[1,0]
	v_pk_add_f16 v4, v4, v7 op_sel:[0,1] op_sel_hi:[1,0] neg_lo:[0,1] neg_hi:[0,1]
	v_sub_f16_sdwa v15, v15, v7 dst_sel:DWORD dst_unused:UNUSED_PAD src0_sel:DWORD src1_sel:WORD_1
	v_sub_f16_e32 v7, v13, v7
	v_bfi_b32 v4, s4, v14, v4
	ds_write_b16 v17, v7 offset:3390
	ds_write_b32 v33, v4 offset:924
	ds_write_b16 v17, v15 offset:3388
	ds_read_b32 v4, v11
	ds_read_b32 v7, v17 offset:3080
	s_waitcnt lgkmcnt(0)
	v_pk_add_f16 v13, v4, v7 neg_lo:[0,1] neg_hi:[0,1]
	v_pk_add_f16 v4, v4, v7
	v_bfi_b32 v7, s4, v13, v4
	v_bfi_b32 v4, s4, v4, v13
	v_pk_mul_f16 v7, v7, 0.5 op_sel_hi:[1,0]
	v_pk_mul_f16 v4, v4, 0.5 op_sel_hi:[1,0]
	s_waitcnt vmcnt(1)
	v_pk_fma_f16 v13, v12, v7, v4 op_sel:[1,0,0]
	v_pk_mul_f16 v14, v12, v7 op_sel_hi:[0,1]
	v_pk_fma_f16 v15, v12, v7, v4 op_sel:[1,0,0] neg_lo:[1,0,0] neg_hi:[1,0,0]
	v_pk_fma_f16 v4, v12, v7, v4 op_sel:[1,0,0] neg_lo:[0,0,1] neg_hi:[0,0,1]
	v_pk_add_f16 v7, v13, v14 op_sel:[0,1] op_sel_hi:[1,0]
	v_pk_add_f16 v12, v13, v14 op_sel:[0,1] op_sel_hi:[1,0] neg_lo:[0,1] neg_hi:[0,1]
	v_pk_add_f16 v13, v15, v14 op_sel:[0,1] op_sel_hi:[1,0] neg_lo:[0,1] neg_hi:[0,1]
	;; [unrolled: 1-line block ×3, first 2 shown]
	v_bfi_b32 v7, s4, v7, v12
	v_bfi_b32 v4, s4, v13, v4
	ds_write_b32 v11, v7
	ds_write_b32 v17, v4 offset:3080
	ds_read_b32 v4, v33 offset:1540
	ds_read_b32 v7, v17 offset:2772
	s_waitcnt lgkmcnt(0)
	v_pk_add_f16 v11, v4, v7 neg_lo:[0,1] neg_hi:[0,1]
	v_pk_add_f16 v4, v4, v7
	v_bfi_b32 v7, s4, v11, v4
	v_bfi_b32 v4, s4, v4, v11
	v_pk_mul_f16 v7, v7, 0.5 op_sel_hi:[1,0]
	v_pk_mul_f16 v4, v4, 0.5 op_sel_hi:[1,0]
	s_waitcnt vmcnt(0)
	v_pk_fma_f16 v11, v23, v7, v4 op_sel:[1,0,0]
	v_pk_mul_f16 v12, v23, v7 op_sel_hi:[0,1]
	v_pk_add_f16 v13, v11, v12 op_sel:[0,1] op_sel_hi:[1,0]
	v_pk_add_f16 v11, v11, v12 op_sel:[0,1] op_sel_hi:[1,0] neg_lo:[0,1] neg_hi:[0,1]
	v_bfi_b32 v11, s4, v13, v11
	v_pk_fma_f16 v13, v23, v7, v4 op_sel:[1,0,0] neg_lo:[1,0,0] neg_hi:[1,0,0]
	v_pk_fma_f16 v4, v23, v7, v4 op_sel:[1,0,0] neg_lo:[0,0,1] neg_hi:[0,0,1]
	v_pk_add_f16 v13, v13, v12 op_sel:[0,1] op_sel_hi:[1,0] neg_lo:[0,1] neg_hi:[0,1]
	v_pk_add_f16 v4, v4, v12 op_sel:[0,1] op_sel_hi:[1,0] neg_lo:[0,1] neg_hi:[0,1]
	v_bfi_b32 v4, s4, v13, v4
	ds_write_b32 v33, v11 offset:1540
	ds_write_b32 v17, v4 offset:2772
	v_lshl_add_u32 v4, v9, 2, v0
	ds_read_b32 v7, v4
	ds_read_b32 v9, v17 offset:2464
	s_waitcnt lgkmcnt(0)
	v_pk_add_f16 v11, v7, v9 neg_lo:[0,1] neg_hi:[0,1]
	v_pk_add_f16 v7, v7, v9
	v_bfi_b32 v9, s4, v11, v7
	v_bfi_b32 v7, s4, v7, v11
	v_pk_mul_f16 v9, v9, 0.5 op_sel_hi:[1,0]
	v_pk_mul_f16 v7, v7, 0.5 op_sel_hi:[1,0]
	v_pk_fma_f16 v11, v10, v9, v7 op_sel:[1,0,0]
	v_pk_mul_f16 v12, v10, v9 op_sel_hi:[0,1]
	v_pk_add_f16 v13, v11, v12 op_sel:[0,1] op_sel_hi:[1,0]
	v_pk_add_f16 v11, v11, v12 op_sel:[0,1] op_sel_hi:[1,0] neg_lo:[0,1] neg_hi:[0,1]
	v_bfi_b32 v11, s4, v13, v11
	v_pk_fma_f16 v13, v10, v9, v7 op_sel:[1,0,0] neg_lo:[1,0,0] neg_hi:[1,0,0]
	v_pk_fma_f16 v7, v10, v9, v7 op_sel:[1,0,0] neg_lo:[0,0,1] neg_hi:[0,0,1]
	v_pk_add_f16 v13, v13, v12 op_sel:[0,1] op_sel_hi:[1,0] neg_lo:[0,1] neg_hi:[0,1]
	v_pk_add_f16 v7, v7, v12 op_sel:[0,1] op_sel_hi:[1,0] neg_lo:[0,1] neg_hi:[0,1]
	ds_write_b32 v4, v11
	v_bfi_b32 v4, s4, v13, v7
	ds_write_b32 v17, v4 offset:2464
	s_waitcnt lgkmcnt(0)
	s_barrier
	s_and_saveexec_b64 s[0:1], vcc
	s_cbranch_execz .LBB0_23
; %bb.21:
	v_mul_lo_u32 v4, s3, v5
	v_mul_lo_u32 v7, s2, v6
	v_mad_u64_u32 v[5:6], s[0:1], s2, v5, 0
	v_lshl_add_u32 v0, v3, 2, v0
	ds_read2_b32 v[9:10], v0 offset1:77
	v_add3_u32 v6, v6, v7, v4
	v_lshlrev_b64 v[5:6], 2, v[5:6]
	v_mov_b32_e32 v7, s11
	v_add_co_u32_e32 v11, vcc, s10, v5
	v_addc_co_u32_e32 v7, vcc, v7, v6, vcc
	v_lshlrev_b64 v[5:6], 2, v[1:2]
	v_mov_b32_e32 v4, v8
	v_add_co_u32_e32 v2, vcc, v11, v5
	v_lshlrev_b64 v[4:5], 2, v[3:4]
	v_addc_co_u32_e32 v1, vcc, v7, v6, vcc
	v_add_co_u32_e32 v4, vcc, v2, v4
	v_addc_co_u32_e32 v5, vcc, v1, v5, vcc
	v_add_u32_e32 v7, 0x4d, v3
	s_waitcnt lgkmcnt(0)
	global_store_dword v[4:5], v9, off
	v_lshlrev_b64 v[4:5], 2, v[7:8]
	v_add_u32_e32 v7, 0x9a, v3
	v_add_co_u32_e32 v4, vcc, v2, v4
	v_addc_co_u32_e32 v5, vcc, v1, v5, vcc
	global_store_dword v[4:5], v10, off
	ds_read2_b32 v[4:5], v0 offset0:154 offset1:231
	v_lshlrev_b64 v[6:7], 2, v[7:8]
	v_add_u32_e32 v9, 0xc00, v0
	v_add_co_u32_e32 v6, vcc, v2, v6
	v_addc_co_u32_e32 v7, vcc, v1, v7, vcc
	s_waitcnt lgkmcnt(0)
	global_store_dword v[6:7], v4, off
	v_add_u32_e32 v7, 0xe7, v3
	v_lshlrev_b64 v[6:7], 2, v[7:8]
	v_add_u32_e32 v4, 0x400, v0
	v_add_co_u32_e32 v6, vcc, v2, v6
	v_addc_co_u32_e32 v7, vcc, v1, v7, vcc
	global_store_dword v[6:7], v5, off
	v_add_u32_e32 v7, 0x134, v3
	ds_read2_b32 v[4:5], v4 offset0:52 offset1:129
	v_lshlrev_b64 v[6:7], 2, v[7:8]
	s_movk_i32 s0, 0x4c
	v_add_co_u32_e32 v6, vcc, v2, v6
	v_addc_co_u32_e32 v7, vcc, v1, v7, vcc
	s_waitcnt lgkmcnt(0)
	global_store_dword v[6:7], v4, off
	v_add_u32_e32 v7, 0x181, v3
	v_lshlrev_b64 v[6:7], 2, v[7:8]
	v_add_u32_e32 v4, 0x600, v0
	v_add_co_u32_e32 v6, vcc, v2, v6
	v_addc_co_u32_e32 v7, vcc, v1, v7, vcc
	global_store_dword v[6:7], v5, off
	v_add_u32_e32 v7, 0x1ce, v3
	ds_read2_b32 v[4:5], v4 offset0:78 offset1:155
	v_lshlrev_b64 v[6:7], 2, v[7:8]
	v_add_co_u32_e32 v6, vcc, v2, v6
	v_addc_co_u32_e32 v7, vcc, v1, v7, vcc
	s_waitcnt lgkmcnt(0)
	global_store_dword v[6:7], v4, off
	v_add_u32_e32 v7, 0x21b, v3
	v_lshlrev_b64 v[6:7], 2, v[7:8]
	v_add_u32_e32 v4, 0x800, v0
	v_add_co_u32_e32 v6, vcc, v2, v6
	v_addc_co_u32_e32 v7, vcc, v1, v7, vcc
	global_store_dword v[6:7], v5, off
	v_add_u32_e32 v7, 0x268, v3
	ds_read2_b32 v[4:5], v4 offset0:104 offset1:181
	v_lshlrev_b64 v[6:7], 2, v[7:8]
	v_add_co_u32_e32 v6, vcc, v2, v6
	v_addc_co_u32_e32 v7, vcc, v1, v7, vcc
	s_waitcnt lgkmcnt(0)
	global_store_dword v[6:7], v4, off
	v_add_u32_e32 v7, 0x2b5, v3
	v_lshlrev_b64 v[6:7], 2, v[7:8]
	v_add_co_u32_e32 v6, vcc, v2, v6
	v_addc_co_u32_e32 v7, vcc, v1, v7, vcc
	global_store_dword v[6:7], v5, off
	v_add_u32_e32 v7, 0x302, v3
	ds_read2_b32 v[4:5], v9 offset0:2 offset1:79
	v_lshlrev_b64 v[6:7], 2, v[7:8]
	v_add_co_u32_e32 v6, vcc, v2, v6
	v_addc_co_u32_e32 v7, vcc, v1, v7, vcc
	s_waitcnt lgkmcnt(0)
	global_store_dword v[6:7], v4, off
	v_add_u32_e32 v7, 0x34f, v3
	v_lshlrev_b64 v[6:7], 2, v[7:8]
	v_add_co_u32_e32 v6, vcc, v2, v6
	v_addc_co_u32_e32 v7, vcc, v1, v7, vcc
	global_store_dword v[6:7], v5, off
	v_add_u32_e32 v7, 0x39c, v3
	ds_read2_b32 v[4:5], v9 offset0:156 offset1:233
	v_lshlrev_b64 v[6:7], 2, v[7:8]
	v_add_co_u32_e32 v6, vcc, v2, v6
	v_addc_co_u32_e32 v7, vcc, v1, v7, vcc
	s_waitcnt lgkmcnt(0)
	global_store_dword v[6:7], v4, off
	v_add_u32_e32 v7, 0x3e9, v3
	v_lshlrev_b64 v[6:7], 2, v[7:8]
	v_add_co_u32_e32 v6, vcc, v2, v6
	v_addc_co_u32_e32 v7, vcc, v1, v7, vcc
	v_cmp_eq_u32_e32 vcc, s0, v3
	global_store_dword v[6:7], v5, off
	s_and_b64 exec, exec, vcc
	s_cbranch_execz .LBB0_23
; %bb.22:
	ds_read_b32 v3, v0 offset:4008
	v_add_co_u32_e32 v0, vcc, 0x1000, v2
	v_addc_co_u32_e32 v1, vcc, 0, v1, vcc
	s_waitcnt lgkmcnt(0)
	global_store_dword v[0:1], v3, off offset:216
.LBB0_23:
	s_endpgm
	.section	.rodata,"a",@progbits
	.p2align	6, 0x0
	.amdhsa_kernel fft_rtc_fwd_len1078_factors_2_11_7_7_wgs_231_tpt_77_halfLds_half_op_CI_CI_unitstride_sbrr_R2C_dirReg
		.amdhsa_group_segment_fixed_size 0
		.amdhsa_private_segment_fixed_size 0
		.amdhsa_kernarg_size 104
		.amdhsa_user_sgpr_count 6
		.amdhsa_user_sgpr_private_segment_buffer 1
		.amdhsa_user_sgpr_dispatch_ptr 0
		.amdhsa_user_sgpr_queue_ptr 0
		.amdhsa_user_sgpr_kernarg_segment_ptr 1
		.amdhsa_user_sgpr_dispatch_id 0
		.amdhsa_user_sgpr_flat_scratch_init 0
		.amdhsa_user_sgpr_private_segment_size 0
		.amdhsa_uses_dynamic_stack 0
		.amdhsa_system_sgpr_private_segment_wavefront_offset 0
		.amdhsa_system_sgpr_workgroup_id_x 1
		.amdhsa_system_sgpr_workgroup_id_y 0
		.amdhsa_system_sgpr_workgroup_id_z 0
		.amdhsa_system_sgpr_workgroup_info 0
		.amdhsa_system_vgpr_workitem_id 0
		.amdhsa_next_free_vgpr 108
		.amdhsa_next_free_sgpr 28
		.amdhsa_reserve_vcc 1
		.amdhsa_reserve_flat_scratch 0
		.amdhsa_float_round_mode_32 0
		.amdhsa_float_round_mode_16_64 0
		.amdhsa_float_denorm_mode_32 3
		.amdhsa_float_denorm_mode_16_64 3
		.amdhsa_dx10_clamp 1
		.amdhsa_ieee_mode 1
		.amdhsa_fp16_overflow 0
		.amdhsa_exception_fp_ieee_invalid_op 0
		.amdhsa_exception_fp_denorm_src 0
		.amdhsa_exception_fp_ieee_div_zero 0
		.amdhsa_exception_fp_ieee_overflow 0
		.amdhsa_exception_fp_ieee_underflow 0
		.amdhsa_exception_fp_ieee_inexact 0
		.amdhsa_exception_int_div_zero 0
	.end_amdhsa_kernel
	.text
.Lfunc_end0:
	.size	fft_rtc_fwd_len1078_factors_2_11_7_7_wgs_231_tpt_77_halfLds_half_op_CI_CI_unitstride_sbrr_R2C_dirReg, .Lfunc_end0-fft_rtc_fwd_len1078_factors_2_11_7_7_wgs_231_tpt_77_halfLds_half_op_CI_CI_unitstride_sbrr_R2C_dirReg
                                        ; -- End function
	.section	.AMDGPU.csdata,"",@progbits
; Kernel info:
; codeLenInByte = 12940
; NumSgprs: 32
; NumVgprs: 108
; ScratchSize: 0
; MemoryBound: 0
; FloatMode: 240
; IeeeMode: 1
; LDSByteSize: 0 bytes/workgroup (compile time only)
; SGPRBlocks: 3
; VGPRBlocks: 26
; NumSGPRsForWavesPerEU: 32
; NumVGPRsForWavesPerEU: 108
; Occupancy: 2
; WaveLimiterHint : 1
; COMPUTE_PGM_RSRC2:SCRATCH_EN: 0
; COMPUTE_PGM_RSRC2:USER_SGPR: 6
; COMPUTE_PGM_RSRC2:TRAP_HANDLER: 0
; COMPUTE_PGM_RSRC2:TGID_X_EN: 1
; COMPUTE_PGM_RSRC2:TGID_Y_EN: 0
; COMPUTE_PGM_RSRC2:TGID_Z_EN: 0
; COMPUTE_PGM_RSRC2:TIDIG_COMP_CNT: 0
	.type	__hip_cuid_75bbddf0ba40872b,@object ; @__hip_cuid_75bbddf0ba40872b
	.section	.bss,"aw",@nobits
	.globl	__hip_cuid_75bbddf0ba40872b
__hip_cuid_75bbddf0ba40872b:
	.byte	0                               ; 0x0
	.size	__hip_cuid_75bbddf0ba40872b, 1

	.ident	"AMD clang version 19.0.0git (https://github.com/RadeonOpenCompute/llvm-project roc-6.4.0 25133 c7fe45cf4b819c5991fe208aaa96edf142730f1d)"
	.section	".note.GNU-stack","",@progbits
	.addrsig
	.addrsig_sym __hip_cuid_75bbddf0ba40872b
	.amdgpu_metadata
---
amdhsa.kernels:
  - .args:
      - .actual_access:  read_only
        .address_space:  global
        .offset:         0
        .size:           8
        .value_kind:     global_buffer
      - .offset:         8
        .size:           8
        .value_kind:     by_value
      - .actual_access:  read_only
        .address_space:  global
        .offset:         16
        .size:           8
        .value_kind:     global_buffer
      - .actual_access:  read_only
        .address_space:  global
        .offset:         24
        .size:           8
        .value_kind:     global_buffer
      - .actual_access:  read_only
        .address_space:  global
        .offset:         32
        .size:           8
        .value_kind:     global_buffer
      - .offset:         40
        .size:           8
        .value_kind:     by_value
      - .actual_access:  read_only
        .address_space:  global
        .offset:         48
        .size:           8
        .value_kind:     global_buffer
      - .actual_access:  read_only
        .address_space:  global
        .offset:         56
        .size:           8
        .value_kind:     global_buffer
      - .offset:         64
        .size:           4
        .value_kind:     by_value
      - .actual_access:  read_only
        .address_space:  global
        .offset:         72
        .size:           8
        .value_kind:     global_buffer
      - .actual_access:  read_only
        .address_space:  global
        .offset:         80
        .size:           8
        .value_kind:     global_buffer
      - .actual_access:  read_only
        .address_space:  global
        .offset:         88
        .size:           8
        .value_kind:     global_buffer
      - .actual_access:  write_only
        .address_space:  global
        .offset:         96
        .size:           8
        .value_kind:     global_buffer
    .group_segment_fixed_size: 0
    .kernarg_segment_align: 8
    .kernarg_segment_size: 104
    .language:       OpenCL C
    .language_version:
      - 2
      - 0
    .max_flat_workgroup_size: 231
    .name:           fft_rtc_fwd_len1078_factors_2_11_7_7_wgs_231_tpt_77_halfLds_half_op_CI_CI_unitstride_sbrr_R2C_dirReg
    .private_segment_fixed_size: 0
    .sgpr_count:     32
    .sgpr_spill_count: 0
    .symbol:         fft_rtc_fwd_len1078_factors_2_11_7_7_wgs_231_tpt_77_halfLds_half_op_CI_CI_unitstride_sbrr_R2C_dirReg.kd
    .uniform_work_group_size: 1
    .uses_dynamic_stack: false
    .vgpr_count:     108
    .vgpr_spill_count: 0
    .wavefront_size: 64
amdhsa.target:   amdgcn-amd-amdhsa--gfx906
amdhsa.version:
  - 1
  - 2
...

	.end_amdgpu_metadata
